;; amdgpu-corpus repo=ROCm/rocFFT kind=compiled arch=gfx1030 opt=O3
	.text
	.amdgcn_target "amdgcn-amd-amdhsa--gfx1030"
	.amdhsa_code_object_version 6
	.protected	fft_rtc_fwd_len3600_factors_10_10_6_6_wgs_120_tpt_120_halfLds_dp_op_CI_CI_sbrr_dirReg ; -- Begin function fft_rtc_fwd_len3600_factors_10_10_6_6_wgs_120_tpt_120_halfLds_dp_op_CI_CI_sbrr_dirReg
	.globl	fft_rtc_fwd_len3600_factors_10_10_6_6_wgs_120_tpt_120_halfLds_dp_op_CI_CI_sbrr_dirReg
	.p2align	8
	.type	fft_rtc_fwd_len3600_factors_10_10_6_6_wgs_120_tpt_120_halfLds_dp_op_CI_CI_sbrr_dirReg,@function
fft_rtc_fwd_len3600_factors_10_10_6_6_wgs_120_tpt_120_halfLds_dp_op_CI_CI_sbrr_dirReg: ; @fft_rtc_fwd_len3600_factors_10_10_6_6_wgs_120_tpt_120_halfLds_dp_op_CI_CI_sbrr_dirReg
; %bb.0:
	s_clause 0x2
	s_load_dwordx4 s[16:19], s[4:5], 0x18
	s_load_dwordx4 s[12:15], s[4:5], 0x0
	;; [unrolled: 1-line block ×3, first 2 shown]
	v_mul_u32_u24_e32 v2, 0x223, v0
	v_mov_b32_e32 v1, 0
	v_mov_b32_e32 v4, 0
	;; [unrolled: 1-line block ×3, first 2 shown]
	s_waitcnt lgkmcnt(0)
	s_load_dwordx2 s[20:21], s[16:17], 0x0
	s_load_dwordx2 s[2:3], s[18:19], 0x0
	v_cmp_lt_u64_e64 s0, s[14:15], 2
	v_add_nc_u32_sdwa v6, s6, v2 dst_sel:DWORD dst_unused:UNUSED_PAD src0_sel:DWORD src1_sel:WORD_1
	v_mov_b32_e32 v7, v1
	s_and_b32 vcc_lo, exec_lo, s0
	s_cbranch_vccnz .LBB0_8
; %bb.1:
	s_load_dwordx2 s[0:1], s[4:5], 0x10
	v_mov_b32_e32 v4, 0
	v_mov_b32_e32 v5, 0
	s_add_u32 s6, s18, 8
	s_addc_u32 s7, s19, 0
	s_add_u32 s22, s16, 8
	s_addc_u32 s23, s17, 0
	v_mov_b32_e32 v137, v5
	v_mov_b32_e32 v136, v4
	s_mov_b64 s[26:27], 1
	s_waitcnt lgkmcnt(0)
	s_add_u32 s24, s0, 8
	s_addc_u32 s25, s1, 0
.LBB0_2:                                ; =>This Inner Loop Header: Depth=1
	s_load_dwordx2 s[28:29], s[24:25], 0x0
                                        ; implicit-def: $vgpr138_vgpr139
	s_mov_b32 s0, exec_lo
	s_waitcnt lgkmcnt(0)
	v_or_b32_e32 v2, s29, v7
	v_cmpx_ne_u64_e32 0, v[1:2]
	s_xor_b32 s1, exec_lo, s0
	s_cbranch_execz .LBB0_4
; %bb.3:                                ;   in Loop: Header=BB0_2 Depth=1
	v_cvt_f32_u32_e32 v2, s28
	v_cvt_f32_u32_e32 v3, s29
	s_sub_u32 s0, 0, s28
	s_subb_u32 s30, 0, s29
	v_fmac_f32_e32 v2, 0x4f800000, v3
	v_rcp_f32_e32 v2, v2
	v_mul_f32_e32 v2, 0x5f7ffffc, v2
	v_mul_f32_e32 v3, 0x2f800000, v2
	v_trunc_f32_e32 v3, v3
	v_fmac_f32_e32 v2, 0xcf800000, v3
	v_cvt_u32_f32_e32 v3, v3
	v_cvt_u32_f32_e32 v2, v2
	v_mul_lo_u32 v8, s0, v3
	v_mul_hi_u32 v9, s0, v2
	v_mul_lo_u32 v10, s30, v2
	v_add_nc_u32_e32 v8, v9, v8
	v_mul_lo_u32 v9, s0, v2
	v_add_nc_u32_e32 v8, v8, v10
	v_mul_hi_u32 v10, v2, v9
	v_mul_lo_u32 v11, v2, v8
	v_mul_hi_u32 v12, v2, v8
	v_mul_hi_u32 v13, v3, v9
	v_mul_lo_u32 v9, v3, v9
	v_mul_hi_u32 v14, v3, v8
	v_mul_lo_u32 v8, v3, v8
	v_add_co_u32 v10, vcc_lo, v10, v11
	v_add_co_ci_u32_e32 v11, vcc_lo, 0, v12, vcc_lo
	v_add_co_u32 v9, vcc_lo, v10, v9
	v_add_co_ci_u32_e32 v9, vcc_lo, v11, v13, vcc_lo
	v_add_co_ci_u32_e32 v10, vcc_lo, 0, v14, vcc_lo
	v_add_co_u32 v8, vcc_lo, v9, v8
	v_add_co_ci_u32_e32 v9, vcc_lo, 0, v10, vcc_lo
	v_add_co_u32 v2, vcc_lo, v2, v8
	v_add_co_ci_u32_e32 v3, vcc_lo, v3, v9, vcc_lo
	v_mul_hi_u32 v8, s0, v2
	v_mul_lo_u32 v10, s30, v2
	v_mul_lo_u32 v9, s0, v3
	v_add_nc_u32_e32 v8, v8, v9
	v_mul_lo_u32 v9, s0, v2
	v_add_nc_u32_e32 v8, v8, v10
	v_mul_hi_u32 v10, v2, v9
	v_mul_lo_u32 v11, v2, v8
	v_mul_hi_u32 v12, v2, v8
	v_mul_hi_u32 v13, v3, v9
	v_mul_lo_u32 v9, v3, v9
	v_mul_hi_u32 v14, v3, v8
	v_mul_lo_u32 v8, v3, v8
	v_add_co_u32 v10, vcc_lo, v10, v11
	v_add_co_ci_u32_e32 v11, vcc_lo, 0, v12, vcc_lo
	v_add_co_u32 v9, vcc_lo, v10, v9
	v_add_co_ci_u32_e32 v9, vcc_lo, v11, v13, vcc_lo
	v_add_co_ci_u32_e32 v10, vcc_lo, 0, v14, vcc_lo
	v_add_co_u32 v8, vcc_lo, v9, v8
	v_add_co_ci_u32_e32 v9, vcc_lo, 0, v10, vcc_lo
	v_add_co_u32 v8, vcc_lo, v2, v8
	v_add_co_ci_u32_e32 v10, vcc_lo, v3, v9, vcc_lo
	v_mul_hi_u32 v12, v6, v8
	v_mad_u64_u32 v[8:9], null, v7, v8, 0
	v_mad_u64_u32 v[2:3], null, v6, v10, 0
	v_mad_u64_u32 v[10:11], null, v7, v10, 0
	v_add_co_u32 v2, vcc_lo, v12, v2
	v_add_co_ci_u32_e32 v3, vcc_lo, 0, v3, vcc_lo
	v_add_co_u32 v2, vcc_lo, v2, v8
	v_add_co_ci_u32_e32 v2, vcc_lo, v3, v9, vcc_lo
	v_add_co_ci_u32_e32 v3, vcc_lo, 0, v11, vcc_lo
	v_add_co_u32 v8, vcc_lo, v2, v10
	v_add_co_ci_u32_e32 v9, vcc_lo, 0, v3, vcc_lo
	v_mul_lo_u32 v10, s29, v8
	v_mad_u64_u32 v[2:3], null, s28, v8, 0
	v_mul_lo_u32 v11, s28, v9
	v_sub_co_u32 v2, vcc_lo, v6, v2
	v_add3_u32 v3, v3, v11, v10
	v_sub_nc_u32_e32 v10, v7, v3
	v_subrev_co_ci_u32_e64 v10, s0, s29, v10, vcc_lo
	v_add_co_u32 v11, s0, v8, 2
	v_add_co_ci_u32_e64 v12, s0, 0, v9, s0
	v_sub_co_u32 v13, s0, v2, s28
	v_sub_co_ci_u32_e32 v3, vcc_lo, v7, v3, vcc_lo
	v_subrev_co_ci_u32_e64 v10, s0, 0, v10, s0
	v_cmp_le_u32_e32 vcc_lo, s28, v13
	v_cmp_eq_u32_e64 s0, s29, v3
	v_cndmask_b32_e64 v13, 0, -1, vcc_lo
	v_cmp_le_u32_e32 vcc_lo, s29, v10
	v_cndmask_b32_e64 v14, 0, -1, vcc_lo
	v_cmp_le_u32_e32 vcc_lo, s28, v2
	;; [unrolled: 2-line block ×3, first 2 shown]
	v_cndmask_b32_e64 v15, 0, -1, vcc_lo
	v_cmp_eq_u32_e32 vcc_lo, s29, v10
	v_cndmask_b32_e64 v2, v15, v2, s0
	v_cndmask_b32_e32 v10, v14, v13, vcc_lo
	v_add_co_u32 v13, vcc_lo, v8, 1
	v_add_co_ci_u32_e32 v14, vcc_lo, 0, v9, vcc_lo
	v_cmp_ne_u32_e32 vcc_lo, 0, v10
	v_cndmask_b32_e32 v3, v14, v12, vcc_lo
	v_cndmask_b32_e32 v10, v13, v11, vcc_lo
	v_cmp_ne_u32_e32 vcc_lo, 0, v2
	v_cndmask_b32_e32 v139, v9, v3, vcc_lo
	v_cndmask_b32_e32 v138, v8, v10, vcc_lo
.LBB0_4:                                ;   in Loop: Header=BB0_2 Depth=1
	s_andn2_saveexec_b32 s0, s1
	s_cbranch_execz .LBB0_6
; %bb.5:                                ;   in Loop: Header=BB0_2 Depth=1
	v_cvt_f32_u32_e32 v2, s28
	s_sub_i32 s1, 0, s28
	v_mov_b32_e32 v139, v1
	v_rcp_iflag_f32_e32 v2, v2
	v_mul_f32_e32 v2, 0x4f7ffffe, v2
	v_cvt_u32_f32_e32 v2, v2
	v_mul_lo_u32 v3, s1, v2
	v_mul_hi_u32 v3, v2, v3
	v_add_nc_u32_e32 v2, v2, v3
	v_mul_hi_u32 v2, v6, v2
	v_mul_lo_u32 v3, v2, s28
	v_add_nc_u32_e32 v8, 1, v2
	v_sub_nc_u32_e32 v3, v6, v3
	v_subrev_nc_u32_e32 v9, s28, v3
	v_cmp_le_u32_e32 vcc_lo, s28, v3
	v_cndmask_b32_e32 v3, v3, v9, vcc_lo
	v_cndmask_b32_e32 v2, v2, v8, vcc_lo
	v_cmp_le_u32_e32 vcc_lo, s28, v3
	v_add_nc_u32_e32 v8, 1, v2
	v_cndmask_b32_e32 v138, v2, v8, vcc_lo
.LBB0_6:                                ;   in Loop: Header=BB0_2 Depth=1
	s_or_b32 exec_lo, exec_lo, s0
	v_mul_lo_u32 v8, v139, s28
	v_mul_lo_u32 v9, v138, s29
	s_load_dwordx2 s[0:1], s[22:23], 0x0
	v_mad_u64_u32 v[2:3], null, v138, s28, 0
	s_load_dwordx2 s[28:29], s[6:7], 0x0
	s_add_u32 s26, s26, 1
	s_addc_u32 s27, s27, 0
	s_add_u32 s6, s6, 8
	s_addc_u32 s7, s7, 0
	s_add_u32 s22, s22, 8
	v_add3_u32 v3, v3, v9, v8
	v_sub_co_u32 v2, vcc_lo, v6, v2
	s_addc_u32 s23, s23, 0
	s_add_u32 s24, s24, 8
	v_sub_co_ci_u32_e32 v3, vcc_lo, v7, v3, vcc_lo
	s_addc_u32 s25, s25, 0
	s_waitcnt lgkmcnt(0)
	v_mul_lo_u32 v6, s0, v3
	v_mul_lo_u32 v7, s1, v2
	v_mad_u64_u32 v[4:5], null, s0, v2, v[4:5]
	v_mul_lo_u32 v3, s28, v3
	v_mul_lo_u32 v8, s29, v2
	v_mad_u64_u32 v[136:137], null, s28, v2, v[136:137]
	v_cmp_ge_u64_e64 s0, s[26:27], s[14:15]
	v_add3_u32 v5, v7, v5, v6
	v_add3_u32 v137, v8, v137, v3
	s_and_b32 vcc_lo, exec_lo, s0
	s_cbranch_vccnz .LBB0_9
; %bb.7:                                ;   in Loop: Header=BB0_2 Depth=1
	v_mov_b32_e32 v6, v138
	v_mov_b32_e32 v7, v139
	s_branch .LBB0_2
.LBB0_8:
	v_mov_b32_e32 v137, v5
	v_mov_b32_e32 v139, v7
	;; [unrolled: 1-line block ×4, first 2 shown]
.LBB0_9:
	s_load_dwordx2 s[0:1], s[4:5], 0x28
	v_mul_hi_u32 v1, 0x2222223, v0
	s_lshl_b64 s[6:7], s[14:15], 3
                                        ; implicit-def: $vgpr150
                                        ; implicit-def: $vgpr152
                                        ; implicit-def: $vgpr154
                                        ; implicit-def: $vgpr151
                                        ; implicit-def: $vgpr153
	s_add_u32 s4, s18, s6
	s_addc_u32 s5, s19, s7
	s_waitcnt lgkmcnt(0)
	v_cmp_gt_u64_e32 vcc_lo, s[0:1], v[138:139]
	v_cmp_le_u64_e64 s0, s[0:1], v[138:139]
	s_and_saveexec_b32 s1, s0
	s_xor_b32 s0, exec_lo, s1
; %bb.10:
	v_mul_u32_u24_e32 v1, 0x78, v1
                                        ; implicit-def: $vgpr4_vgpr5
	v_sub_nc_u32_e32 v150, v0, v1
                                        ; implicit-def: $vgpr1
                                        ; implicit-def: $vgpr0
	v_add_nc_u32_e32 v152, 0x78, v150
	v_add_nc_u32_e32 v154, 0xf0, v150
	;; [unrolled: 1-line block ×4, first 2 shown]
; %bb.11:
	s_or_saveexec_b32 s1, s0
                                        ; implicit-def: $vgpr6_vgpr7
                                        ; implicit-def: $vgpr22_vgpr23
                                        ; implicit-def: $vgpr10_vgpr11
                                        ; implicit-def: $vgpr30_vgpr31
                                        ; implicit-def: $vgpr18_vgpr19
                                        ; implicit-def: $vgpr38_vgpr39
                                        ; implicit-def: $vgpr14_vgpr15
                                        ; implicit-def: $vgpr34_vgpr35
                                        ; implicit-def: $vgpr26_vgpr27
                                        ; implicit-def: $vgpr2_vgpr3
                                        ; implicit-def: $vgpr42_vgpr43
                                        ; implicit-def: $vgpr50_vgpr51
                                        ; implicit-def: $vgpr66_vgpr67
                                        ; implicit-def: $vgpr54_vgpr55
                                        ; implicit-def: $vgpr72_vgpr73
                                        ; implicit-def: $vgpr62_vgpr63
                                        ; implicit-def: $vgpr80_vgpr81
                                        ; implicit-def: $vgpr58_vgpr59
                                        ; implicit-def: $vgpr76_vgpr77
                                        ; implicit-def: $vgpr46_vgpr47
                                        ; implicit-def: $vgpr84_vgpr85
                                        ; implicit-def: $vgpr88_vgpr89
                                        ; implicit-def: $vgpr92_vgpr93
                                        ; implicit-def: $vgpr96_vgpr97
                                        ; implicit-def: $vgpr104_vgpr105
                                        ; implicit-def: $vgpr108_vgpr109
                                        ; implicit-def: $vgpr116_vgpr117
                                        ; implicit-def: $vgpr120_vgpr121
                                        ; implicit-def: $vgpr112_vgpr113
                                        ; implicit-def: $vgpr100_vgpr101
	s_xor_b32 exec_lo, exec_lo, s1
	s_cbranch_execz .LBB0_13
; %bb.12:
	s_add_u32 s6, s16, s6
	s_addc_u32 s7, s17, s7
	v_mul_u32_u24_e32 v1, 0x78, v1
	s_load_dwordx2 s[6:7], s[6:7], 0x0
	v_lshlrev_b64 v[2:3], 4, v[4:5]
	v_sub_nc_u32_e32 v150, v0, v1
	v_add_nc_u32_e32 v151, 0x168, v150
	v_add_nc_u32_e32 v16, 0x2d0, v150
	v_mad_u64_u32 v[0:1], null, s20, v150, 0
	v_add_nc_u32_e32 v17, 0x438, v150
	v_mad_u64_u32 v[4:5], null, s20, v151, 0
	v_mad_u64_u32 v[6:7], null, s20, v16, 0
	v_add_nc_u32_e32 v20, 0x5a0, v150
	v_mad_u64_u32 v[10:11], null, s21, v150, v[1:2]
	s_waitcnt lgkmcnt(0)
	v_mul_lo_u32 v13, s7, v138
	v_mul_lo_u32 v14, s6, v139
	v_mad_u64_u32 v[8:9], null, s6, v138, 0
	v_mov_b32_e32 v1, v5
	v_mad_u64_u32 v[11:12], null, s20, v17, 0
	v_mov_b32_e32 v5, v7
	v_add_nc_u32_e32 v22, 0x9d8, v150
	v_add_nc_u32_e32 v24, 0xb40, v150
	v_add3_u32 v9, v9, v14, v13
	v_mad_u64_u32 v[13:14], null, s21, v151, v[1:2]
	v_mov_b32_e32 v1, v10
	v_mad_u64_u32 v[14:15], null, s20, v20, 0
	v_lshlrev_b64 v[7:8], 4, v[8:9]
	v_mad_u64_u32 v[9:10], null, s21, v16, v[5:6]
	v_mov_b32_e32 v10, v12
	v_mov_b32_e32 v5, v13
	v_lshlrev_b64 v[0:1], 4, v[0:1]
	v_add_co_u32 v12, s0, s8, v7
	v_add_co_ci_u32_e64 v8, s0, s9, v8, s0
	v_mov_b32_e32 v7, v9
	v_add_co_u32 v18, s0, v12, v2
	v_add_co_ci_u32_e64 v19, s0, v8, v3, s0
	v_lshlrev_b64 v[2:3], 4, v[4:5]
	v_mad_u64_u32 v[4:5], null, s21, v17, v[10:11]
	v_add_nc_u32_e32 v10, 0x708, v150
	v_lshlrev_b64 v[5:6], 4, v[6:7]
	v_mov_b32_e32 v7, v15
	v_add_co_u32 v0, s0, v18, v0
	v_mad_u64_u32 v[16:17], null, s20, v10, 0
	v_add_co_ci_u32_e64 v1, s0, v19, v1, s0
	v_mov_b32_e32 v12, v4
	v_mad_u64_u32 v[7:8], null, s21, v20, v[7:8]
	v_add_co_u32 v2, s0, v18, v2
	v_add_nc_u32_e32 v20, 0x870, v150
	v_add_co_ci_u32_e64 v3, s0, v19, v3, s0
	v_add_co_u32 v4, s0, v18, v5
	v_lshlrev_b64 v[8:9], 4, v[11:12]
	v_add_co_ci_u32_e64 v5, s0, v19, v6, s0
	v_mov_b32_e32 v6, v17
	v_mad_u64_u32 v[12:13], null, s20, v20, 0
	v_mov_b32_e32 v15, v7
	v_add_nc_u32_e32 v26, 0xca8, v150
	v_mad_u64_u32 v[10:11], null, s21, v10, v[6:7]
	v_add_co_u32 v6, s0, v18, v8
	v_add_co_ci_u32_e64 v7, s0, v19, v9, s0
	v_lshlrev_b64 v[8:9], 4, v[14:15]
	v_mad_u64_u32 v[14:15], null, s20, v22, 0
	v_mov_b32_e32 v11, v13
	v_mov_b32_e32 v17, v10
	v_add_nc_u32_e32 v152, 0x78, v150
	v_add_co_u32 v8, s0, v18, v8
	v_mad_u64_u32 v[10:11], null, s21, v20, v[11:12]
	v_mov_b32_e32 v11, v15
	v_mad_u64_u32 v[20:21], null, s20, v24, 0
	v_lshlrev_b64 v[16:17], 4, v[16:17]
	v_add_co_ci_u32_e64 v9, s0, v19, v9, s0
	v_mad_u64_u32 v[22:23], null, s21, v22, v[11:12]
	v_mov_b32_e32 v13, v10
	v_add_co_u32 v10, s0, v18, v16
	v_mov_b32_e32 v16, v21
	v_add_co_ci_u32_e64 v11, s0, v19, v17, s0
	v_mov_b32_e32 v15, v22
	v_mad_u64_u32 v[22:23], null, s20, v26, 0
	v_mad_u64_u32 v[16:17], null, s21, v24, v[16:17]
	;; [unrolled: 1-line block ×3, first 2 shown]
	v_lshlrev_b64 v[12:13], 4, v[12:13]
	v_add_nc_u32_e32 v153, 0x1e0, v150
	v_mov_b32_e32 v17, v23
	v_lshlrev_b64 v[14:15], 4, v[14:15]
	v_mov_b32_e32 v21, v16
	v_add_nc_u32_e32 v32, 0x348, v150
	v_add_co_u32 v12, s0, v18, v12
	v_mad_u64_u32 v[16:17], null, s21, v26, v[17:18]
	v_mov_b32_e32 v17, v25
	v_lshlrev_b64 v[20:21], 4, v[20:21]
	v_mad_u64_u32 v[26:27], null, s20, v153, 0
	v_add_co_ci_u32_e64 v13, s0, v19, v13, s0
	v_mad_u64_u32 v[28:29], null, s21, v152, v[17:18]
	v_add_co_u32 v14, s0, v18, v14
	v_mov_b32_e32 v23, v16
	v_add_co_ci_u32_e64 v15, s0, v19, v15, s0
	v_add_co_u32 v16, s0, v18, v20
	v_mov_b32_e32 v25, v28
	v_mad_u64_u32 v[28:29], null, s20, v32, 0
	v_add_co_ci_u32_e64 v17, s0, v19, v21, s0
	v_lshlrev_b64 v[20:21], 4, v[22:23]
	v_mov_b32_e32 v22, v27
	v_add_nc_u32_e32 v34, 0x4b0, v150
	v_add_nc_u32_e32 v36, 0x618, v150
	v_or_b32_e32 v38, 0x780, v150
	v_add_nc_u32_e32 v40, 0x8e8, v150
	v_mad_u64_u32 v[22:23], null, s21, v153, v[22:23]
	v_lshlrev_b64 v[23:24], 4, v[24:25]
	v_mov_b32_e32 v25, v29
	v_mad_u64_u32 v[30:31], null, s20, v34, 0
	v_add_co_u32 v20, s0, v18, v20
	v_mad_u64_u32 v[32:33], null, s21, v32, v[25:26]
	v_mov_b32_e32 v27, v22
	v_add_co_ci_u32_e64 v21, s0, v19, v21, s0
	v_add_co_u32 v22, s0, v18, v23
	v_add_co_ci_u32_e64 v23, s0, v19, v24, s0
	v_mov_b32_e32 v29, v32
	v_mad_u64_u32 v[32:33], null, s20, v36, 0
	v_lshlrev_b64 v[24:25], 4, v[26:27]
	v_mov_b32_e32 v26, v31
	v_add_nc_u32_e32 v42, 0xa50, v150
	v_add_nc_u32_e32 v44, 0xbb8, v150
	;; [unrolled: 1-line block ×4, first 2 shown]
	v_mad_u64_u32 v[26:27], null, s21, v34, v[26:27]
	v_lshlrev_b64 v[27:28], 4, v[28:29]
	v_mov_b32_e32 v29, v33
	v_mad_u64_u32 v[34:35], null, s20, v38, 0
	v_add_co_u32 v24, s0, v18, v24
	v_mad_u64_u32 v[36:37], null, s21, v36, v[29:30]
	v_mov_b32_e32 v31, v26
	v_add_co_ci_u32_e64 v25, s0, v19, v25, s0
	v_add_co_u32 v26, s0, v18, v27
	v_add_co_ci_u32_e64 v27, s0, v19, v28, s0
	v_mov_b32_e32 v33, v36
	v_mad_u64_u32 v[36:37], null, s20, v40, 0
	v_lshlrev_b64 v[28:29], 4, v[30:31]
	v_mov_b32_e32 v30, v35
	v_add_nc_u32_e32 v50, 0x258, v150
	v_add_nc_u32_e32 v52, 0x3c0, v150
	;; [unrolled: 1-line block ×4, first 2 shown]
	v_mad_u64_u32 v[30:31], null, s21, v38, v[30:31]
	v_lshlrev_b64 v[31:32], 4, v[32:33]
	v_mov_b32_e32 v33, v37
	v_mad_u64_u32 v[38:39], null, s20, v42, 0
	v_add_co_u32 v28, s0, v18, v28
	v_mad_u64_u32 v[40:41], null, s21, v40, v[33:34]
	v_mov_b32_e32 v35, v30
	v_add_co_ci_u32_e64 v29, s0, v19, v29, s0
	v_add_co_u32 v30, s0, v18, v31
	v_add_co_ci_u32_e64 v31, s0, v19, v32, s0
	v_mov_b32_e32 v37, v40
	v_mad_u64_u32 v[40:41], null, s20, v44, 0
	v_lshlrev_b64 v[32:33], 4, v[34:35]
	v_mov_b32_e32 v34, v39
	s_clause 0x1
	global_load_dwordx4 v[98:101], v[0:1], off
	global_load_dwordx4 v[110:113], v[2:3], off
	v_mad_u64_u32 v[34:35], null, s21, v42, v[34:35]
	v_lshlrev_b64 v[35:36], 4, v[36:37]
	v_mov_b32_e32 v37, v41
	v_mad_u64_u32 v[42:43], null, s20, v46, 0
	v_add_co_u32 v32, s0, v18, v32
	v_mad_u64_u32 v[44:45], null, s21, v44, v[37:38]
	v_mov_b32_e32 v39, v34
	v_add_co_ci_u32_e64 v33, s0, v19, v33, s0
	v_add_co_u32 v34, s0, v18, v35
	v_add_co_ci_u32_e64 v35, s0, v19, v36, s0
	v_mov_b32_e32 v41, v44
	v_mad_u64_u32 v[44:45], null, s20, v154, 0
	v_lshlrev_b64 v[36:37], 4, v[38:39]
	v_mov_b32_e32 v38, v43
	v_mad_u64_u32 v[38:39], null, s21, v46, v[38:39]
	v_lshlrev_b64 v[39:40], 4, v[40:41]
	v_mov_b32_e32 v41, v45
	v_mad_u64_u32 v[46:47], null, s20, v50, 0
	v_add_co_u32 v36, s0, v18, v36
	v_mad_u64_u32 v[48:49], null, s21, v154, v[41:42]
	v_mov_b32_e32 v43, v38
	v_add_co_ci_u32_e64 v37, s0, v19, v37, s0
	v_add_co_u32 v38, s0, v18, v39
	v_add_co_ci_u32_e64 v39, s0, v19, v40, s0
	v_mov_b32_e32 v45, v48
	v_mad_u64_u32 v[48:49], null, s20, v52, 0
	v_lshlrev_b64 v[40:41], 4, v[42:43]
	v_mov_b32_e32 v42, v47
	v_mad_u64_u32 v[42:43], null, s21, v50, v[42:43]
	v_lshlrev_b64 v[43:44], 4, v[44:45]
	v_mov_b32_e32 v45, v49
	v_mad_u64_u32 v[50:51], null, s20, v54, 0
	v_add_co_u32 v40, s0, v18, v40
	v_mad_u64_u32 v[52:53], null, s21, v52, v[45:46]
	v_mov_b32_e32 v47, v42
	v_add_nc_u32_e32 v53, 0x690, v150
	v_add_co_ci_u32_e64 v41, s0, v19, v41, s0
	v_add_co_u32 v68, s0, v18, v43
	v_lshlrev_b64 v[42:43], 4, v[46:47]
	v_mad_u64_u32 v[45:46], null, s20, v53, 0
	v_add_co_ci_u32_e64 v69, s0, v19, v44, s0
	v_mov_b32_e32 v44, v51
	v_mov_b32_e32 v49, v52
	v_add_co_u32 v122, s0, v18, v42
	v_add_co_ci_u32_e64 v123, s0, v19, v43, s0
	v_mad_u64_u32 v[51:52], null, s21, v54, v[44:45]
	v_add_nc_u32_e32 v54, 0x7f8, v150
	v_lshlrev_b64 v[42:43], 4, v[48:49]
	v_mov_b32_e32 v44, v46
	v_mad_u64_u32 v[47:48], null, s20, v54, 0
	v_add_co_u32 v124, s0, v18, v42
	v_mad_u64_u32 v[52:53], null, s21, v53, v[44:45]
	v_add_co_ci_u32_e64 v125, s0, v19, v43, s0
	v_lshlrev_b64 v[43:44], 4, v[50:51]
	v_mov_b32_e32 v42, v48
	v_mad_u64_u32 v[49:50], null, s20, v55, 0
	v_mov_b32_e32 v46, v52
	v_mad_u64_u32 v[53:54], null, s21, v54, v[42:43]
	v_add_co_u32 v126, s0, v18, v43
	v_add_co_ci_u32_e64 v127, s0, v19, v44, s0
	v_mov_b32_e32 v44, v50
	v_add_nc_u32_e32 v54, 0xc30, v150
	v_mov_b32_e32 v48, v53
	v_add_nc_u32_e32 v53, 0xac8, v150
	v_lshlrev_b64 v[42:43], 4, v[45:46]
	v_mad_u64_u32 v[44:45], null, s21, v55, v[44:45]
	v_mad_u64_u32 v[51:52], null, s20, v54, 0
	;; [unrolled: 1-line block ×3, first 2 shown]
	v_add_nc_u32_e32 v55, 0xd98, v150
	v_add_co_u32 v128, s0, v18, v42
	v_add_co_ci_u32_e64 v129, s0, v19, v43, s0
	v_lshlrev_b64 v[42:43], 4, v[47:48]
	v_mov_b32_e32 v50, v44
	v_mov_b32_e32 v44, v46
	v_mad_u64_u32 v[47:48], null, s20, v55, 0
	v_mov_b32_e32 v46, v52
	v_add_co_u32 v130, s0, v18, v42
	v_mad_u64_u32 v[52:53], null, s21, v53, v[44:45]
	v_add_co_ci_u32_e64 v131, s0, v19, v43, s0
	v_mad_u64_u32 v[53:54], null, s21, v54, v[46:47]
	v_lshlrev_b64 v[43:44], 4, v[49:50]
	v_mov_b32_e32 v42, v48
	v_mov_b32_e32 v46, v52
	;; [unrolled: 1-line block ×3, first 2 shown]
	v_mad_u64_u32 v[48:49], null, s21, v55, v[42:43]
	v_add_co_u32 v132, s0, v18, v43
	v_lshlrev_b64 v[42:43], 4, v[45:46]
	v_lshlrev_b64 v[0:1], 4, v[51:52]
	v_add_co_ci_u32_e64 v133, s0, v19, v44, s0
	v_lshlrev_b64 v[2:3], 4, v[47:48]
	v_add_co_u32 v134, s0, v18, v42
	v_add_co_ci_u32_e64 v135, s0, v19, v43, s0
	v_add_co_u32 v140, s0, v18, v0
	v_add_co_ci_u32_e64 v141, s0, v19, v1, s0
	;; [unrolled: 2-line block ×3, first 2 shown]
	s_clause 0x1b
	global_load_dwordx4 v[118:121], v[4:5], off
	global_load_dwordx4 v[114:117], v[6:7], off
	;; [unrolled: 1-line block ×28, first 2 shown]
.LBB0_13:
	s_or_b32 exec_lo, exec_lo, s1
	s_waitcnt vmcnt(20)
	v_add_f64 v[68:69], v[82:83], v[114:115]
	v_add_f64 v[122:123], v[90:91], v[102:103]
	v_add_f64 v[146:147], v[116:117], -v[84:85]
	v_add_f64 v[155:156], v[84:85], v[116:117]
	v_add_f64 v[157:158], v[104:105], -v[92:93]
	v_add_f64 v[159:160], v[92:93], v[104:105]
	s_mov_b32 s8, 0x134454ff
	s_mov_b32 s9, 0x3fee6f0e
	;; [unrolled: 1-line block ×4, first 2 shown]
	v_add_f64 v[124:125], v[94:95], v[106:107]
	v_add_f64 v[126:127], v[86:87], v[118:119]
	v_add_f64 v[169:170], v[114:115], -v[102:103]
	v_add_f64 v[171:172], v[102:103], -v[114:115]
	;; [unrolled: 1-line block ×6, first 2 shown]
	s_mov_b32 s14, 0x4755a5e
	s_mov_b32 s15, 0x3fe2cf23
	;; [unrolled: 1-line block ×4, first 2 shown]
	v_fma_f64 v[68:69], v[68:69], -0.5, v[110:111]
	v_fma_f64 v[122:123], v[122:123], -0.5, v[110:111]
	v_add_f64 v[110:111], v[114:115], v[110:111]
	v_add_f64 v[114:115], v[116:117], v[112:113]
	v_fma_f64 v[155:156], v[155:156], -0.5, v[112:113]
	v_fma_f64 v[112:113], v[159:160], -0.5, v[112:113]
	v_add_f64 v[128:129], v[96:97], v[108:109]
	v_add_f64 v[130:131], v[88:89], v[120:121]
	;; [unrolled: 1-line block ×4, first 2 shown]
	v_add_f64 v[140:141], v[120:121], -v[88:89]
	v_add_f64 v[142:143], v[118:119], -v[106:107]
	;; [unrolled: 1-line block ×8, first 2 shown]
	v_fma_f64 v[124:125], v[124:125], -0.5, v[98:99]
	v_add_f64 v[169:170], v[173:174], v[169:170]
	v_fma_f64 v[98:99], v[126:127], -0.5, v[98:99]
	v_add_f64 v[126:127], v[177:178], v[171:172]
	v_fma_f64 v[159:160], v[157:158], s[8:9], v[68:69]
	v_fma_f64 v[189:190], v[146:147], s[0:1], v[122:123]
	;; [unrolled: 1-line block ×7, first 2 shown]
	s_mov_b32 s16, 0x372fe950
	s_mov_b32 s17, 0x3fd3c6ef
	v_add_f64 v[144:145], v[106:107], -v[118:119]
	v_add_f64 v[118:119], v[118:119], -v[86:87]
	;; [unrolled: 1-line block ×5, first 2 shown]
	v_fma_f64 v[155:156], v[179:180], s[8:9], v[155:156]
	v_add_f64 v[106:107], v[106:107], v[132:133]
	v_add_f64 v[108:109], v[108:109], v[134:135]
	;; [unrolled: 1-line block ×4, first 2 shown]
	v_fma_f64 v[110:111], v[128:129], -0.5, v[100:101]
	v_fma_f64 v[100:101], v[130:131], -0.5, v[100:101]
	v_add_f64 v[114:115], v[165:166], v[142:143]
	v_fma_f64 v[159:160], v[146:147], s[6:7], v[159:160]
	v_fma_f64 v[173:174], v[157:158], s[6:7], v[189:190]
	;; [unrolled: 1-line block ×4, first 2 shown]
	v_add_f64 v[128:129], v[187:188], v[183:184]
	v_add_f64 v[116:117], v[191:192], v[116:117]
	v_fma_f64 v[130:131], v[140:141], s[8:9], v[124:125]
	v_fma_f64 v[132:133], v[175:176], s[14:15], v[197:198]
	;; [unrolled: 1-line block ×6, first 2 shown]
	s_mov_b32 s18, 0x9b97f4a8
	s_mov_b32 s19, 0x3fe9e377
	v_add_f64 v[167:168], v[94:95], -v[86:87]
	v_add_f64 v[181:182], v[88:89], -v[96:97]
	;; [unrolled: 1-line block ×3, first 2 shown]
	s_waitcnt vmcnt(10)
	v_add_f64 v[157:158], v[40:41], v[78:79]
	v_fma_f64 v[98:99], v[161:162], s[8:9], v[98:99]
	v_fma_f64 v[155:156], v[175:176], s[6:7], v[155:156]
	v_add_f64 v[94:95], v[94:95], v[106:107]
	v_add_f64 v[96:97], v[96:97], v[108:109]
	v_fma_f64 v[146:147], v[126:127], s[16:17], v[159:160]
	v_fma_f64 v[159:160], v[169:170], s[16:17], v[173:174]
	;; [unrolled: 1-line block ×4, first 2 shown]
	v_add_f64 v[90:91], v[90:91], v[102:103]
	v_add_f64 v[92:93], v[92:93], v[104:105]
	v_fma_f64 v[102:103], v[118:119], s[0:1], v[110:111]
	v_fma_f64 v[106:107], v[118:119], s[8:9], v[110:111]
	;; [unrolled: 1-line block ×10, first 2 shown]
	v_add_f64 v[195:196], v[64:65], v[70:71]
	v_add_f64 v[144:145], v[167:168], v[144:145]
	v_add_f64 v[104:105], v[181:182], v[148:149]
	v_fma_f64 v[98:99], v[140:141], s[6:7], v[98:99]
	v_add_f64 v[120:121], v[185:186], v[120:121]
	v_fma_f64 v[116:117], v[116:117], s[16:17], v[155:156]
	v_mul_f64 v[128:129], v[146:147], s[16:17]
	v_mul_f64 v[134:135], v[159:160], s[18:19]
	;; [unrolled: 1-line block ×3, first 2 shown]
	v_add_f64 v[86:87], v[86:87], v[94:95]
	v_add_f64 v[148:149], v[88:89], v[96:97]
	;; [unrolled: 1-line block ×4, first 2 shown]
	v_fma_f64 v[84:85], v[163:164], s[6:7], v[102:103]
	v_mul_f64 v[88:89], v[122:123], s[6:7]
	v_fma_f64 v[90:91], v[163:164], s[14:15], v[106:107]
	v_fma_f64 v[92:93], v[118:119], s[6:7], v[108:109]
	;; [unrolled: 1-line block ×3, first 2 shown]
	v_mul_f64 v[96:97], v[126:127], s[16:17]
	v_fma_f64 v[100:101], v[114:115], s[16:17], v[110:111]
	v_fma_f64 v[108:109], v[114:115], s[16:17], v[124:125]
	v_mul_f64 v[106:107], v[132:133], s[18:19]
	v_add_f64 v[122:123], v[72:73], -v[66:67]
	v_fma_f64 v[124:125], v[157:158], -0.5, v[74:75]
	v_mul_f64 v[142:143], v[68:69], s[16:17]
	v_fma_f64 v[102:103], v[144:145], s[16:17], v[130:131]
	v_fma_f64 v[98:99], v[144:145], s[16:17], v[98:99]
	v_add_f64 v[130:131], v[80:81], -v[42:43]
	v_fma_f64 v[110:111], v[126:127], s[8:9], -v[128:129]
	v_fma_f64 v[114:115], v[132:133], s[14:15], -v[134:135]
	v_add_f64 v[128:129], v[66:67], v[72:73]
	v_add_f64 v[134:135], v[42:43], v[80:81]
	v_fma_f64 v[118:119], v[112:113], s[14:15], v[140:141]
	v_fma_f64 v[132:133], v[195:196], -0.5, v[74:75]
	v_add_f64 v[161:162], v[78:79], -v[40:41]
	v_fma_f64 v[140:141], v[104:105], s[16:17], v[84:85]
	v_add_f64 v[84:85], v[52:53], v[60:61]
	v_fma_f64 v[157:158], v[104:105], s[16:17], v[90:91]
	v_fma_f64 v[144:145], v[120:121], s[16:17], v[92:93]
	;; [unrolled: 1-line block ×3, first 2 shown]
	v_fma_f64 v[146:147], v[146:147], s[0:1], -v[96:97]
	v_add_f64 v[92:93], v[48:49], v[56:57]
	v_add_f64 v[94:95], v[78:79], -v[70:71]
	v_fma_f64 v[159:160], v[159:160], s[6:7], -v[106:107]
	v_add_f64 v[96:97], v[70:71], -v[78:79]
	v_add_f64 v[104:105], v[70:71], -v[64:65]
	;; [unrolled: 1-line block ×3, first 2 shown]
	v_fma_f64 v[163:164], v[122:123], s[0:1], v[124:125]
	v_fma_f64 v[124:125], v[122:123], s[8:9], v[124:125]
	v_add_f64 v[165:166], v[40:41], -v[64:65]
	v_add_f64 v[193:194], v[56:57], v[44:45]
	v_fma_f64 v[126:127], v[116:117], s[8:9], v[142:143]
	v_fma_f64 v[128:129], v[128:129], -0.5, v[76:77]
	v_fma_f64 v[134:135], v[134:135], -0.5, v[76:77]
	v_fma_f64 v[112:113], v[112:113], s[18:19], v[88:89]
	v_fma_f64 v[167:168], v[130:131], s[8:9], v[132:133]
	v_add_f64 v[88:89], v[82:83], v[86:87]
	v_add_f64 v[86:87], v[86:87], -v[82:83]
	v_fma_f64 v[82:83], v[130:131], s[0:1], v[132:133]
	v_add_f64 v[90:91], v[100:101], v[118:119]
	v_add_f64 v[132:133], v[62:63], -v[54:55]
	v_add_f64 v[171:172], v[58:59], -v[50:51]
	v_fma_f64 v[84:85], v[84:85], -0.5, v[44:45]
	v_fma_f64 v[44:45], v[92:93], -0.5, v[44:45]
	v_add_f64 v[74:75], v[78:79], v[74:75]
	v_add_f64 v[78:79], v[80:81], -v[72:73]
	v_add_f64 v[173:174], v[72:73], -v[80:81]
	;; [unrolled: 1-line block ×3, first 2 shown]
	v_add_f64 v[96:97], v[106:107], v[96:97]
	v_add_f64 v[106:107], v[66:67], -v[42:43]
	v_fma_f64 v[163:164], v[130:131], s[14:15], v[163:164]
	v_fma_f64 v[124:125], v[130:131], s[6:7], v[124:125]
	v_add_f64 v[130:131], v[165:166], v[94:95]
	v_add_f64 v[92:93], v[100:101], -v[118:119]
	v_fma_f64 v[165:166], v[161:162], s[0:1], v[128:129]
	v_fma_f64 v[177:178], v[104:105], s[8:9], v[134:135]
	;; [unrolled: 1-line block ×3, first 2 shown]
	v_mul_f64 v[68:69], v[68:69], s[0:1]
	v_add_f64 v[142:143], v[58:59], v[46:47]
	v_add_f64 v[169:170], v[60:61], v[193:194]
	v_fma_f64 v[167:168], v[122:123], s[14:15], v[167:168]
	v_add_f64 v[94:95], v[102:103], -v[126:127]
	v_fma_f64 v[128:129], v[161:162], s[8:9], v[128:129]
	v_fma_f64 v[82:83], v[122:123], s[6:7], v[82:83]
	v_add_f64 v[100:101], v[102:103], v[126:127]
	v_add_f64 v[122:123], v[56:57], -v[60:61]
	v_add_f64 v[76:77], v[80:81], v[76:77]
	v_add_f64 v[80:81], v[60:61], -v[56:57]
	v_add_f64 v[126:127], v[48:49], -v[52:53]
	;; [unrolled: 1-line block ×3, first 2 shown]
	v_add_f64 v[74:75], v[70:71], v[74:75]
	v_add_f64 v[78:79], v[175:176], v[78:79]
	v_fma_f64 v[175:176], v[171:172], s[8:9], v[84:85]
	v_fma_f64 v[179:180], v[171:172], s[0:1], v[84:85]
	v_add_f64 v[173:174], v[106:107], v[173:174]
	v_fma_f64 v[181:182], v[132:133], s[0:1], v[44:45]
	v_fma_f64 v[44:45], v[132:133], s[8:9], v[44:45]
	;; [unrolled: 1-line block ×8, first 2 shown]
	v_add_f64 v[102:103], v[98:99], v[110:111]
	v_fma_f64 v[167:168], v[130:131], s[16:17], v[167:168]
	v_fma_f64 v[124:125], v[104:105], s[14:15], v[128:129]
	;; [unrolled: 1-line block ×3, first 2 shown]
	v_add_f64 v[84:85], v[108:109], v[114:115]
	v_add_f64 v[96:97], v[98:99], -v[110:111]
	v_add_f64 v[98:99], v[108:109], -v[114:115]
	v_add_f64 v[110:111], v[62:63], v[142:143]
	v_add_f64 v[114:115], v[52:53], v[169:170]
	;; [unrolled: 1-line block ×5, first 2 shown]
	v_fma_f64 v[126:127], v[132:133], s[14:15], v[175:176]
	v_fma_f64 v[130:131], v[132:133], s[6:7], v[179:180]
	v_add_f64 v[132:133], v[134:135], v[80:81]
	v_fma_f64 v[134:135], v[171:172], s[14:15], v[181:182]
	v_fma_f64 v[44:45], v[171:172], s[6:7], v[44:45]
	;; [unrolled: 1-line block ×4, first 2 shown]
	v_mul_f64 v[165:166], v[163:164], s[16:17]
	v_fma_f64 v[118:119], v[173:174], s[16:17], v[118:119]
	v_mul_f64 v[169:170], v[106:107], s[16:17]
	v_add_f64 v[68:69], v[155:156], v[148:149]
	v_add_f64 v[70:71], v[140:141], v[112:113]
	v_mul_f64 v[161:162], v[167:168], s[18:19]
	v_fma_f64 v[124:125], v[78:79], s[16:17], v[124:125]
	s_waitcnt vmcnt(7)
	v_add_f64 v[173:174], v[32:33], v[0:1]
	v_add_f64 v[175:176], v[34:35], v[2:3]
	v_add_f64 v[80:81], v[144:145], v[116:117]
	v_add_f64 v[74:75], v[148:149], -v[155:156]
	v_add_f64 v[76:77], v[140:141], -v[112:113]
	;; [unrolled: 1-line block ×3, first 2 shown]
	v_add_f64 v[110:111], v[54:55], v[110:111]
	v_add_f64 v[114:115], v[48:49], v[114:115]
	;; [unrolled: 1-line block ×4, first 2 shown]
	v_mul_f64 v[171:172], v[104:105], s[18:19]
	v_fma_f64 v[134:135], v[132:133], s[16:17], v[134:135]
	v_fma_f64 v[132:133], v[132:133], s[16:17], v[44:45]
	v_add_f64 v[82:83], v[120:121], v[146:147]
	v_add_f64 v[72:73], v[157:158], v[159:160]
	v_fma_f64 v[144:145], v[108:109], s[8:9], v[165:166]
	v_add_f64 v[112:113], v[54:55], v[62:63]
	v_fma_f64 v[148:149], v[118:119], s[8:9], -v[169:170]
	v_add_f64 v[116:117], v[50:51], v[58:59]
	v_fma_f64 v[40:41], v[122:123], s[16:17], v[126:127]
	v_fma_f64 v[126:127], v[142:143], s[14:15], v[161:162]
	v_add_f64 v[64:65], v[120:121], -v[146:147]
	s_waitcnt vmcnt(5)
	v_add_f64 v[155:156], v[36:37], v[173:174]
	v_add_f64 v[161:162], v[38:39], v[175:176]
	v_add_f64 v[66:67], v[157:158], -v[159:160]
	v_add_f64 v[146:147], v[56:57], -v[48:49]
	;; [unrolled: 1-line block ×4, first 2 shown]
	v_add_f64 v[110:111], v[50:51], v[110:111]
	v_fma_f64 v[122:123], v[122:123], s[16:17], v[130:131]
	v_add_f64 v[128:129], v[42:43], v[128:129]
	v_add_f64 v[44:45], v[140:141], v[114:115]
	v_add_f64 v[54:55], v[114:115], -v[140:141]
	s_waitcnt vmcnt(0)
	v_add_f64 v[140:141], v[4:5], v[12:13]
	v_fma_f64 v[130:131], v[124:125], s[14:15], -v[171:172]
	v_add_f64 v[60:61], v[60:61], -v[52:53]
	v_add_f64 v[169:170], v[6:7], v[14:15]
	v_add_f64 v[42:43], v[134:135], -v[144:145]
	v_add_f64 v[48:49], v[134:135], v[144:145]
	v_add_f64 v[50:51], v[132:133], v[148:149]
	;; [unrolled: 1-line block ×3, first 2 shown]
	v_add_f64 v[56:57], v[132:133], -v[148:149]
	v_add_f64 v[132:133], v[8:9], v[16:17]
	v_fma_f64 v[112:113], v[112:113], -0.5, v[46:47]
	v_fma_f64 v[116:117], v[116:117], -0.5, v[46:47]
	v_add_f64 v[46:47], v[40:41], v[126:127]
	v_add_f64 v[40:41], v[40:41], -v[126:127]
	v_add_f64 v[114:115], v[28:29], v[155:156]
	v_add_f64 v[126:127], v[30:31], v[161:162]
	;; [unrolled: 1-line block ×4, first 2 shown]
	v_add_f64 v[179:180], v[18:19], -v[10:11]
	v_add_f64 v[181:182], v[14:15], -v[6:7]
	;; [unrolled: 1-line block ×4, first 2 shown]
	v_fma_f64 v[140:141], v[140:141], -0.5, v[24:25]
	v_add_f64 v[52:53], v[122:123], v[130:131]
	v_add_f64 v[58:59], v[122:123], -v[130:131]
	v_add_f64 v[122:123], v[28:29], v[36:37]
	v_add_f64 v[130:131], v[38:39], -v[30:31]
	v_add_f64 v[148:149], v[32:33], -v[36:37]
	;; [unrolled: 1-line block ×3, first 2 shown]
	v_add_f64 v[134:135], v[16:17], v[134:135]
	v_add_f64 v[161:162], v[30:31], v[38:39]
	v_fma_f64 v[24:25], v[132:133], -0.5, v[24:25]
	v_add_f64 v[36:37], v[36:37], -v[28:29]
	v_add_f64 v[165:166], v[34:35], -v[38:39]
	v_add_f64 v[38:39], v[38:39], -v[34:35]
	v_add_f64 v[171:172], v[34:35], -v[22:23]
	v_add_f64 v[173:174], v[20:21], v[32:33]
	v_add_f64 v[32:33], v[32:33], -v[20:21]
	v_add_f64 v[34:35], v[22:23], v[34:35]
	v_add_f64 v[177:178], v[20:21], -v[28:29]
	v_add_f64 v[28:29], v[28:29], -v[20:21]
	;; [unrolled: 1-line block ×4, first 2 shown]
	v_add_f64 v[144:145], v[18:19], v[144:145]
	v_add_f64 v[20:21], v[20:21], v[114:115]
	v_add_f64 v[114:115], v[12:13], -v[16:17]
	v_add_f64 v[183:184], v[16:17], -v[12:13]
	v_fma_f64 v[185:186], v[146:147], s[0:1], v[112:113]
	v_fma_f64 v[112:113], v[146:147], s[8:9], v[112:113]
	v_add_f64 v[16:17], v[16:17], -v[8:9]
	v_fma_f64 v[169:170], v[169:170], -0.5, v[26:27]
	v_add_f64 v[12:13], v[12:13], -v[4:5]
	v_fma_f64 v[187:188], v[60:61], s[8:9], v[116:117]
	v_fma_f64 v[116:117], v[60:61], s[0:1], v[116:117]
	v_fma_f64 v[26:27], v[175:176], -0.5, v[26:27]
	v_add_f64 v[175:176], v[4:5], -v[8:9]
	v_add_f64 v[189:190], v[8:9], -v[4:5]
	v_add_f64 v[22:23], v[22:23], v[126:127]
	v_add_f64 v[126:127], v[14:15], -v[18:19]
	v_fma_f64 v[191:192], v[179:180], s[8:9], v[140:141]
	v_add_f64 v[14:15], v[18:19], -v[14:15]
	v_add_f64 v[8:9], v[8:9], v[134:135]
	v_fma_f64 v[18:19], v[181:182], s[8:9], v[24:25]
	v_fma_f64 v[134:135], v[179:180], s[0:1], v[140:141]
	;; [unrolled: 1-line block ×3, first 2 shown]
	v_add_f64 v[140:141], v[10:11], v[144:145]
	v_add_f64 v[144:145], v[6:7], -v[10:11]
	v_add_f64 v[10:11], v[10:11], -v[6:7]
	v_add_f64 v[120:121], v[157:158], v[120:121]
	v_fma_f64 v[157:158], v[60:61], s[6:7], v[185:186]
	v_fma_f64 v[60:61], v[60:61], s[14:15], v[112:113]
	v_add_f64 v[62:63], v[159:160], v[62:63]
	v_fma_f64 v[112:113], v[16:17], s[0:1], v[169:170]
	v_fma_f64 v[122:123], v[122:123], -0.5, v[0:1]
	v_fma_f64 v[159:160], v[146:147], s[6:7], v[187:188]
	v_fma_f64 v[116:117], v[146:147], s[14:15], v[116:117]
	;; [unrolled: 1-line block ×3, first 2 shown]
	v_add_f64 v[114:115], v[175:176], v[114:115]
	v_add_f64 v[175:176], v[189:190], v[183:184]
	v_fma_f64 v[0:1], v[173:174], -0.5, v[0:1]
	v_fma_f64 v[26:27], v[12:13], s[0:1], v[26:27]
	v_fma_f64 v[173:174], v[181:182], s[6:7], v[191:192]
	;; [unrolled: 1-line block ×3, first 2 shown]
	v_fma_f64 v[161:162], v[161:162], -0.5, v[2:3]
	v_fma_f64 v[18:19], v[179:180], s[14:15], v[18:19]
	v_fma_f64 v[134:135], v[181:182], s[14:15], v[134:135]
	;; [unrolled: 1-line block ×3, first 2 shown]
	v_mul_f64 v[167:168], v[167:168], s[6:7]
	v_fma_f64 v[2:3], v[34:35], -0.5, v[2:3]
	v_add_f64 v[34:35], v[4:5], v[8:9]
	v_add_f64 v[140:141], v[6:7], v[140:141]
	v_fma_f64 v[4:5], v[120:121], s[16:17], v[157:158]
	v_fma_f64 v[6:7], v[120:121], s[16:17], v[60:61]
	v_add_f64 v[8:9], v[10:11], v[14:15]
	v_fma_f64 v[10:11], v[12:13], s[14:15], v[112:113]
	v_fma_f64 v[14:15], v[171:172], s[8:9], v[122:123]
	;; [unrolled: 1-line block ×3, first 2 shown]
	v_add_f64 v[112:113], v[144:145], v[126:127]
	v_fma_f64 v[120:121], v[16:17], s[14:15], v[146:147]
	v_fma_f64 v[122:123], v[62:63], s[16:17], v[159:160]
	;; [unrolled: 1-line block ×15, first 2 shown]
	v_add_f64 v[146:147], v[177:178], v[148:149]
	v_add_f64 v[28:29], v[28:29], v[155:156]
	v_mul_f64 v[134:135], v[163:164], s[0:1]
	v_fma_f64 v[10:11], v[8:9], s[16:17], v[10:11]
	v_fma_f64 v[14:15], v[130:131], s[14:15], v[14:15]
	v_fma_f64 v[60:61], v[130:131], s[6:7], v[60:61]
	v_fma_f64 v[130:131], v[32:33], s[8:9], v[161:162]
	v_fma_f64 v[120:121], v[112:113], s[16:17], v[120:121]
	v_mul_f64 v[118:119], v[118:119], s[16:17]
	v_mul_f64 v[124:125], v[124:125], s[18:19]
	v_fma_f64 v[62:63], v[171:172], s[14:15], v[62:63]
	v_fma_f64 v[16:17], v[112:113], s[16:17], v[16:17]
	v_mul_f64 v[148:149], v[126:127], s[16:17]
	v_fma_f64 v[8:9], v[8:9], s[16:17], v[12:13]
	v_fma_f64 v[0:1], v[171:172], s[6:7], v[0:1]
	v_mul_f64 v[12:13], v[18:19], s[18:19]
	v_mul_f64 v[112:113], v[26:27], s[16:17]
	;; [unrolled: 1-line block ×3, first 2 shown]
	v_add_f64 v[30:31], v[30:31], v[38:39]
	v_fma_f64 v[142:143], v[36:37], s[6:7], v[142:143]
	v_fma_f64 v[38:39], v[32:33], s[6:7], v[144:145]
	;; [unrolled: 1-line block ×3, first 2 shown]
	v_mul_f64 v[18:19], v[18:19], s[6:7]
	v_mul_f64 v[26:27], v[26:27], s[0:1]
	v_fma_f64 v[134:135], v[108:109], s[16:17], v[134:135]
	v_add_f64 v[132:133], v[132:133], v[165:166]
	v_fma_f64 v[14:15], v[146:147], s[16:17], v[14:15]
	v_mul_f64 v[32:33], v[10:11], s[16:17]
	v_fma_f64 v[36:37], v[36:37], s[14:15], v[130:131]
	v_fma_f64 v[130:131], v[146:147], s[16:17], v[60:61]
	v_fma_f64 v[118:119], v[106:107], s[0:1], -v[118:119]
	v_mul_f64 v[108:109], v[120:121], s[18:19]
	v_fma_f64 v[144:145], v[28:29], s[16:17], v[62:63]
	v_fma_f64 v[124:125], v[104:105], s[6:7], -v[124:125]
	v_fma_f64 v[146:147], v[10:11], s[8:9], -v[148:149]
	v_add_f64 v[10:11], v[20:21], -v[34:35]
	v_fma_f64 v[28:29], v[28:29], s[16:17], v[0:1]
	v_fma_f64 v[12:13], v[16:17], s[14:15], v[12:13]
	;; [unrolled: 1-line block ×3, first 2 shown]
	v_fma_f64 v[155:156], v[120:121], s[14:15], -v[155:156]
	v_add_f64 v[0:1], v[34:35], v[20:21]
	v_mul_u32_u24_e32 v20, 10, v150
	v_fma_f64 v[38:39], v[30:31], s[16:17], v[38:39]
	v_fma_f64 v[30:31], v[30:31], s[16:17], v[2:3]
	;; [unrolled: 1-line block ×3, first 2 shown]
	v_add_f64 v[62:63], v[4:5], v[114:115]
	v_add_f64 v[112:113], v[4:5], -v[114:115]
	v_fma_f64 v[26:27], v[8:9], s[16:17], v[26:27]
	v_lshl_add_u32 v162, v20, 3, 0
	v_mul_i32_i24_e32 v20, 10, v152
	v_fma_f64 v[142:143], v[132:133], s[16:17], v[142:143]
	v_fma_f64 v[32:33], v[126:127], s[0:1], -v[32:33]
	v_add_f64 v[106:107], v[116:117], v[118:119]
	v_fma_f64 v[24:25], v[24:25], s[6:7], -v[108:109]
	v_add_f64 v[116:117], v[116:117], -v[118:119]
	v_add_f64 v[108:109], v[6:7], v[124:125]
	v_add_f64 v[118:119], v[6:7], -v[124:125]
	v_fma_f64 v[36:37], v[132:133], s[16:17], v[36:37]
	v_add_f64 v[16:17], v[28:29], -v[146:147]
	v_add_f64 v[2:3], v[14:15], v[12:13]
	v_add_f64 v[12:13], v[14:15], -v[12:13]
	v_add_f64 v[14:15], v[144:145], -v[148:149]
	;; [unrolled: 1-line block ×3, first 2 shown]
	v_add_f64 v[4:5], v[144:145], v[148:149]
	v_add_f64 v[6:7], v[28:29], v[146:147]
	;; [unrolled: 1-line block ×3, first 2 shown]
	v_lshl_add_u32 v155, v20, 3, 0
	v_mul_i32_i24_e32 v20, 10, v154
	s_load_dwordx2 s[4:5], s[4:5], 0x0
	ds_write_b128 v162, v[88:91]
	ds_write_b128 v162, v[100:103] offset:16
	ds_write_b128 v162, v[84:87] offset:32
	;; [unrolled: 1-line block ×4, first 2 shown]
	ds_write_b128 v155, v[44:47]
	v_add_f64 v[60:61], v[128:129], v[110:111]
	v_lshl_add_u32 v156, v20, 3, 0
	ds_write_b128 v155, v[48:51] offset:16
	ds_write_b128 v155, v[52:55] offset:32
	;; [unrolled: 1-line block ×4, first 2 shown]
	ds_write_b128 v156, v[0:3]
	ds_write_b128 v156, v[4:7] offset:16
	ds_write_b128 v156, v[8:11] offset:32
	;; [unrolled: 1-line block ×4, first 2 shown]
	v_and_b32_e32 v12, 0xff, v150
	v_add_f64 v[104:105], v[122:123], v[134:135]
	v_add_f64 v[114:115], v[122:123], -v[134:135]
	v_add_f64 v[122:123], v[142:143], v[157:158]
	v_add_f64 v[132:133], v[142:143], -v[157:158]
	v_mul_lo_u16 v52, 0xcd, v12
	v_mad_i32_i24 v157, 0xffffffb8, v150, v162
	v_and_b32_e32 v164, 0xff, v152
	v_add_f64 v[120:121], v[140:141], v[22:23]
	v_add_f64 v[124:125], v[38:39], v[26:27]
	v_lshrrev_b16 v168, 11, v52
	v_add_f64 v[126:127], v[30:31], v[32:33]
	v_add_f64 v[179:180], v[30:31], -v[32:33]
	v_add_f64 v[181:182], v[36:37], -v[24:25]
	;; [unrolled: 1-line block ×3, first 2 shown]
	v_add_f64 v[128:129], v[36:37], v[24:25]
	v_add_f64 v[130:131], v[22:23], -v[140:141]
	v_add_f64 v[134:135], v[38:39], -v[26:27]
	v_add_nc_u32_e32 v149, 0x1400, v157
	v_add_nc_u32_e32 v148, 0x3400, v157
	;; [unrolled: 1-line block ×4, first 2 shown]
	v_mul_lo_u16 v52, v168, 10
	v_mul_lo_u16 v53, 0xcd, v164
	v_add_nc_u32_e32 v174, 0x1c00, v157
	v_lshl_add_u32 v158, v151, 3, 0
	v_add_nc_u32_e32 v177, 0x4000, v157
	v_add_nc_u32_e32 v169, 0x2400, v157
	;; [unrolled: 1-line block ×5, first 2 shown]
	v_mad_i32_i24 v160, 0xffffffb8, v152, v155
	v_add_nc_u32_e32 v172, 0x5800, v157
	v_mad_i32_i24 v161, 0xffffffb8, v154, v156
	v_add_nc_u32_e32 v178, 0x6000, v157
	v_add_nc_u32_e32 v170, 0x6800, v157
	s_waitcnt lgkmcnt(0)
	s_barrier
	buffer_gl0_inv
	ds_read2_b64 v[48:51], v149 offset0:80 offset1:200
	ds_read2_b64 v[16:19], v174 offset0:64 offset1:184
	;; [unrolled: 1-line block ×12, first 2 shown]
	ds_read_b64 v[144:145], v157
	ds_read_b64 v[146:147], v158
	;; [unrolled: 1-line block ×4, first 2 shown]
	ds_read2_b64 v[12:15], v170 offset0:32 offset1:152
	s_waitcnt lgkmcnt(0)
	s_barrier
	buffer_gl0_inv
	ds_write_b128 v162, v[68:71]
	ds_write_b128 v162, v[80:83] offset:16
	ds_write_b128 v162, v[72:75] offset:32
	;; [unrolled: 1-line block ×4, first 2 shown]
	ds_write_b128 v155, v[60:63]
	v_sub_nc_u16 v171, v150, v52
	v_mov_b32_e32 v60, 9
	v_lshrrev_b16 v162, 11, v53
	ds_write_b128 v155, v[104:107] offset:16
	ds_write_b128 v155, v[108:111] offset:32
	;; [unrolled: 1-line block ×4, first 2 shown]
	ds_write_b128 v156, v[120:123]
	v_mul_u32_u24_sdwa v52, v171, v60 dst_sel:DWORD dst_unused:UNUSED_PAD src0_sel:BYTE_0 src1_sel:DWORD
	v_mul_lo_u16 v53, v162, 10
	ds_write_b128 v156, v[124:127] offset:16
	ds_write_b128 v156, v[128:131] offset:32
	;; [unrolled: 1-line block ×4, first 2 shown]
	s_waitcnt lgkmcnt(0)
	v_lshlrev_b32_e32 v61, 4, v52
	v_sub_nc_u16 v163, v152, v53
	s_barrier
	buffer_gl0_inv
	v_mov_b32_e32 v62, 0xcccd
	global_load_dwordx4 v[52:55], v61, s[12:13] offset:16
	v_mul_u32_u24_sdwa v56, v163, v60 dst_sel:DWORD dst_unused:UNUSED_PAD src0_sel:BYTE_0 src1_sel:DWORD
	v_mul_u32_u24_sdwa v62, v154, v62 dst_sel:DWORD dst_unused:UNUSED_PAD src0_sel:WORD_0 src1_sel:DWORD
	v_lshlrev_b32_e32 v179, 4, v56
	s_clause 0xc
	global_load_dwordx4 v[56:59], v179, s[12:13] offset:16
	global_load_dwordx4 v[92:95], v61, s[12:13] offset:32
	;; [unrolled: 1-line block ×8, first 2 shown]
	global_load_dwordx4 v[120:123], v61, s[12:13]
	global_load_dwordx4 v[108:111], v61, s[12:13] offset:112
	global_load_dwordx4 v[104:107], v179, s[12:13] offset:80
	;; [unrolled: 1-line block ×3, first 2 shown]
	global_load_dwordx4 v[96:99], v179, s[12:13]
	v_lshrrev_b32_e32 v166, 19, v62
	v_mul_lo_u16 v62, v166, 10
	v_sub_nc_u16 v167, v154, v62
	v_mul_u32_u24_sdwa v60, v167, v60 dst_sel:DWORD dst_unused:UNUSED_PAD src0_sel:WORD_0 src1_sel:DWORD
	v_lshlrev_b32_e32 v180, 4, v60
	s_clause 0xc
	global_load_dwordx4 v[88:91], v180, s[12:13]
	global_load_dwordx4 v[84:87], v180, s[12:13] offset:16
	global_load_dwordx4 v[80:83], v179, s[12:13] offset:32
	;; [unrolled: 1-line block ×12, first 2 shown]
	ds_read2_b64 v[205:208], v149 offset0:80 offset1:200
	ds_read2_b64 v[209:212], v174 offset0:64 offset1:184
	;; [unrolled: 1-line block ×7, first 2 shown]
	ds_read_b64 v[243:244], v158
	s_waitcnt vmcnt(26) lgkmcnt(7)
	v_mul_f64 v[229:230], v[205:206], v[54:55]
	v_mul_f64 v[54:55], v[48:49], v[54:55]
	s_waitcnt vmcnt(25)
	v_mul_f64 v[174:175], v[207:208], v[58:59]
	v_mul_f64 v[231:232], v[50:51], v[58:59]
	s_waitcnt vmcnt(24) lgkmcnt(6)
	v_mul_f64 v[233:234], v[211:212], v[94:95]
	v_mul_f64 v[94:95], v[18:19], v[94:95]
	s_waitcnt vmcnt(23)
	v_mul_f64 v[235:236], v[10:11], v[70:71]
	s_waitcnt vmcnt(22)
	;; [unrolled: 2-line block ×3, first 2 shown]
	v_mul_f64 v[241:242], v[2:3], v[134:135]
	s_waitcnt lgkmcnt(4)
	v_mul_f64 v[239:240], v[219:220], v[134:135]
	v_mul_f64 v[245:246], v[44:45], v[130:131]
	s_waitcnt lgkmcnt(2)
	v_mul_f64 v[247:248], v[223:224], v[70:71]
	s_waitcnt lgkmcnt(1)
	v_mul_f64 v[249:250], v[227:228], v[126:127]
	v_fma_f64 v[148:149], v[48:49], v[52:53], -v[229:230]
	v_mul_f64 v[229:230], v[213:214], v[130:131]
	v_fma_f64 v[58:59], v[205:206], v[52:53], v[54:55]
	s_waitcnt vmcnt(19)
	v_mul_f64 v[52:53], v[215:216], v[118:119]
	v_fma_f64 v[50:51], v[50:51], v[56:57], -v[174:175]
	v_fma_f64 v[48:49], v[207:208], v[56:57], v[231:232]
	ds_read2_b64 v[205:208], v172 offset0:64 offset1:184
	ds_read2_b64 v[172:175], v173 offset0:96 offset1:216
	v_mul_f64 v[54:55], v[46:47], v[118:119]
	v_fma_f64 v[233:234], v[18:19], v[92:93], -v[233:234]
	v_fma_f64 v[134:135], v[211:212], v[92:93], v[94:95]
	v_fma_f64 v[126:127], v[223:224], v[68:69], v[235:236]
	s_waitcnt vmcnt(17)
	v_mul_f64 v[94:95], v[146:147], v[122:123]
	v_fma_f64 v[18:19], v[227:228], v[124:125], v[237:238]
	s_waitcnt lgkmcnt(2)
	v_mul_f64 v[211:212], v[243:244], v[122:123]
	v_fma_f64 v[118:119], v[219:220], v[132:133], v[241:242]
	v_fma_f64 v[132:133], v[2:3], v[132:133], -v[239:240]
	v_mul_f64 v[231:232], v[177:178], v[114:115]
	v_mul_f64 v[114:115], v[40:41], v[114:115]
	s_waitcnt vmcnt(15)
	v_mul_f64 v[219:220], v[179:180], v[106:107]
	v_fma_f64 v[2:3], v[213:214], v[128:129], v[245:246]
	v_fma_f64 v[213:214], v[10:11], v[68:69], -v[247:248]
	v_fma_f64 v[223:224], v[6:7], v[124:125], -v[249:250]
	ds_read_b64 v[70:71], v160
	ds_read_b64 v[56:57], v161
	;; [unrolled: 1-line block ×3, first 2 shown]
	v_fma_f64 v[44:45], v[44:45], v[128:129], -v[229:230]
	ds_read2_b64 v[122:125], v169 offset0:48 offset1:168
	s_waitcnt vmcnt(14) lgkmcnt(5)
	v_mul_f64 v[128:129], v[207:208], v[102:103]
	v_fma_f64 v[92:93], v[46:47], v[116:117], -v[52:53]
	v_mul_f64 v[52:53], v[42:43], v[106:107]
	v_mul_f64 v[106:107], v[205:206], v[110:111]
	;; [unrolled: 1-line block ×3, first 2 shown]
	s_waitcnt vmcnt(13) lgkmcnt(4)
	v_mul_f64 v[227:228], v[172:173], v[98:99]
	v_fma_f64 v[68:69], v[215:216], v[116:117], v[54:55]
	v_mul_f64 v[98:99], v[28:29], v[98:99]
	v_fma_f64 v[46:47], v[243:244], v[120:121], v[94:95]
	v_add_f64 v[229:230], v[126:127], v[18:19]
	v_fma_f64 v[116:117], v[146:147], v[120:121], -v[211:212]
	v_add_f64 v[120:121], v[134:135], v[118:119]
	v_mul_f64 v[110:111], v[36:37], v[110:111]
	v_add_f64 v[146:147], v[233:234], v[132:133]
	v_fma_f64 v[40:41], v[40:41], v[112:113], -v[231:232]
	s_waitcnt vmcnt(12)
	v_mul_f64 v[211:212], v[174:175], v[90:91]
	v_fma_f64 v[6:7], v[177:178], v[112:113], v[114:115]
	v_fma_f64 v[94:95], v[42:43], v[104:105], -v[219:220]
	v_mul_f64 v[42:43], v[30:31], v[90:91]
	s_waitcnt vmcnt(11)
	v_mul_f64 v[112:113], v[209:210], v[86:87]
	v_mul_f64 v[114:115], v[16:17], v[86:87]
	v_add_f64 v[176:177], v[126:127], -v[134:135]
	v_fma_f64 v[86:87], v[38:39], v[100:101], -v[128:129]
	v_add_f64 v[38:39], v[213:214], v[223:224]
	v_fma_f64 v[54:55], v[179:180], v[104:105], v[52:53]
	v_fma_f64 v[36:37], v[36:37], v[108:109], -v[106:107]
	v_fma_f64 v[52:53], v[207:208], v[100:101], v[102:103]
	s_waitcnt vmcnt(10) lgkmcnt(0)
	v_mul_f64 v[100:101], v[122:123], v[82:83]
	v_mul_f64 v[102:103], v[20:21], v[82:83]
	v_fma_f64 v[128:129], v[28:29], v[96:97], -v[227:228]
	v_add_f64 v[104:105], v[233:234], -v[132:133]
	v_fma_f64 v[28:29], v[229:230], -0.5, v[46:47]
	v_fma_f64 v[90:91], v[172:173], v[96:97], v[98:99]
	v_add_f64 v[172:173], v[213:214], -v[223:224]
	v_fma_f64 v[106:107], v[120:121], -0.5, v[46:47]
	v_fma_f64 v[10:11], v[205:206], v[108:109], v[110:111]
	v_add_f64 v[96:97], v[126:127], -v[18:19]
	v_fma_f64 v[108:109], v[146:147], -0.5, v[116:117]
	v_fma_f64 v[30:31], v[30:31], v[88:89], -v[211:212]
	s_waitcnt vmcnt(9)
	v_mul_f64 v[110:111], v[124:125], v[78:79]
	v_mul_f64 v[120:121], v[22:23], v[78:79]
	v_fma_f64 v[82:83], v[174:175], v[88:89], v[42:43]
	v_fma_f64 v[88:89], v[16:17], v[84:85], -v[112:113]
	v_fma_f64 v[78:79], v[209:210], v[84:85], v[114:115]
	v_add_f64 v[42:43], v[134:135], -v[126:127]
	v_add_f64 v[84:85], v[118:119], -v[18:19]
	v_add_f64 v[112:113], v[44:45], v[40:41]
	v_fma_f64 v[38:39], v[38:39], -0.5, v[116:117]
	v_add_f64 v[114:115], v[134:135], -v[118:119]
	v_add_f64 v[16:17], v[148:149], v[36:37]
	v_fma_f64 v[146:147], v[20:21], v[80:81], -v[100:101]
	v_fma_f64 v[80:81], v[122:123], v[80:81], v[102:103]
	v_add_f64 v[102:103], v[213:214], -v[233:234]
	v_fma_f64 v[122:123], v[104:105], s[0:1], v[28:29]
	v_add_f64 v[174:175], v[223:224], -v[132:133]
	v_add_f64 v[178:179], v[18:19], -v[118:119]
	v_fma_f64 v[205:206], v[172:173], s[8:9], v[106:107]
	s_waitcnt vmcnt(8)
	v_mul_f64 v[20:21], v[221:222], v[74:75]
	ds_read2_b64 v[98:101], v159 offset0:128 offset1:248
	v_fma_f64 v[207:208], v[96:97], s[8:9], v[108:109]
	v_fma_f64 v[211:212], v[96:97], s[0:1], v[108:109]
	v_fma_f64 v[209:210], v[22:23], v[76:77], -v[110:111]
	v_fma_f64 v[76:77], v[124:125], v[76:77], v[120:121]
	v_mul_f64 v[110:111], v[8:9], v[74:75]
	v_add_f64 v[74:75], v[233:234], -v[213:214]
	v_add_f64 v[120:121], v[132:133], -v[223:224]
	;; [unrolled: 1-line block ×3, first 2 shown]
	v_add_f64 v[42:43], v[42:43], v[84:85]
	v_fma_f64 v[84:85], v[112:113], -0.5, v[144:145]
	v_add_f64 v[22:23], v[116:117], v[233:234]
	v_fma_f64 v[112:113], v[114:115], s[8:9], v[38:39]
	v_fma_f64 v[38:39], v[114:115], s[0:1], v[38:39]
	v_add_f64 v[116:117], v[2:3], -v[6:7]
	v_fma_f64 v[16:17], v[16:17], -0.5, v[144:145]
	v_add_f64 v[144:145], v[144:145], v[148:149]
	v_fma_f64 v[122:123], v[172:173], s[6:7], v[122:123]
	v_add_f64 v[102:103], v[102:103], v[174:175]
	v_fma_f64 v[174:175], v[172:173], s[0:1], v[106:107]
	;; [unrolled: 2-line block ×3, first 2 shown]
	v_fma_f64 v[28:29], v[104:105], s[8:9], v[28:29]
	v_fma_f64 v[205:206], v[114:115], s[6:7], v[207:208]
	s_waitcnt vmcnt(7) lgkmcnt(0)
	v_mul_f64 v[207:208], v[98:99], v[66:67]
	v_mul_f64 v[215:216], v[32:33], v[66:67]
	v_add_f64 v[66:67], v[148:149], -v[44:45]
	v_add_f64 v[219:220], v[36:37], -v[40:41]
	ds_read2_b64 v[106:109], v170 offset0:32 offset1:152
	v_add_f64 v[120:121], v[74:75], v[120:121]
	v_add_f64 v[227:228], v[44:45], -v[148:149]
	v_add_f64 v[229:230], v[40:41], -v[36:37]
	v_fma_f64 v[169:170], v[124:125], s[8:9], v[84:85]
	v_add_f64 v[213:214], v[22:23], v[213:214]
	v_fma_f64 v[233:234], v[96:97], s[14:15], v[112:113]
	v_fma_f64 v[38:39], v[96:97], s[6:7], v[38:39]
	v_fma_f64 v[74:75], v[8:9], v[72:73], -v[20:21]
	v_fma_f64 v[231:232], v[116:117], s[0:1], v[16:17]
	v_fma_f64 v[16:17], v[116:117], s[8:9], v[16:17]
	v_add_f64 v[144:145], v[144:145], v[44:45]
	v_fma_f64 v[22:23], v[42:43], s[16:17], v[122:123]
	v_fma_f64 v[20:21], v[114:115], s[14:15], v[211:212]
	;; [unrolled: 1-line block ×6, first 2 shown]
	v_fma_f64 v[32:33], v[32:33], v[64:65], -v[207:208]
	ds_read2_b64 v[110:113], v165 offset0:80 offset1:200
	s_waitcnt vmcnt(5) lgkmcnt(1)
	v_mul_f64 v[207:208], v[106:107], v[183:184]
	v_add_f64 v[122:123], v[66:67], v[219:220]
	v_fma_f64 v[96:97], v[102:103], s[16:17], v[205:206]
	v_fma_f64 v[84:85], v[124:125], s[0:1], v[84:85]
	s_waitcnt vmcnt(4)
	v_mul_f64 v[211:212], v[225:226], v[187:188]
	v_add_f64 v[178:179], v[227:228], v[229:230]
	v_mul_f64 v[114:115], v[100:101], v[62:63]
	v_add_f64 v[174:175], v[213:214], v[223:224]
	v_fma_f64 v[28:29], v[120:121], s[16:17], v[233:234]
	v_fma_f64 v[66:67], v[120:121], s[16:17], v[38:39]
	;; [unrolled: 1-line block ×3, first 2 shown]
	v_mul_f64 v[169:170], v[12:13], v[183:184]
	v_fma_f64 v[205:206], v[124:125], s[14:15], v[231:232]
	v_fma_f64 v[124:125], v[124:125], s[6:7], v[16:17]
	v_add_f64 v[38:39], v[144:145], v[40:41]
	v_mul_f64 v[144:145], v[22:23], s[14:15]
	v_fma_f64 v[20:21], v[102:103], s[16:17], v[20:21]
	v_fma_f64 v[16:17], v[176:177], s[16:17], v[104:105]
	v_mul_f64 v[104:105], v[8:9], s[8:9]
	s_waitcnt vmcnt(3) lgkmcnt(0)
	v_mul_f64 v[213:214], v[110:111], v[191:192]
	v_mul_f64 v[191:192], v[24:25], v[191:192]
	v_fma_f64 v[102:103], v[42:43], s[16:17], v[172:173]
	v_fma_f64 v[42:43], v[12:13], v[181:182], -v[207:208]
	v_mul_f64 v[183:184], v[34:35], v[62:63]
	v_mul_f64 v[176:177], v[96:97], s[16:17]
	;; [unrolled: 1-line block ×3, first 2 shown]
	s_waitcnt vmcnt(2)
	v_mul_f64 v[219:220], v[112:113], v[195:196]
	v_mul_f64 v[195:196], v[26:27], v[195:196]
	v_fma_f64 v[116:117], v[116:117], s[6:7], v[84:85]
	v_add_f64 v[132:133], v[174:175], v[132:133]
	s_waitcnt vmcnt(1)
	v_mul_f64 v[221:222], v[217:218], v[199:200]
	v_mul_f64 v[12:13], v[66:67], s[18:19]
	v_fma_f64 v[172:173], v[122:123], s[16:17], v[120:121]
	v_fma_f64 v[62:63], v[106:107], v[181:182], v[169:170]
	;; [unrolled: 1-line block ×4, first 2 shown]
	v_add_f64 v[38:39], v[38:39], v[36:37]
	v_fma_f64 v[144:145], v[28:29], s[18:19], v[144:145]
	v_fma_f64 v[106:107], v[4:5], v[185:186], -v[211:212]
	v_add_f64 v[4:5], v[50:51], v[86:87]
	v_fma_f64 v[178:179], v[20:21], s[16:17], v[104:105]
	v_fma_f64 v[104:105], v[98:99], v[64:65], v[215:216]
	v_fma_f64 v[84:85], v[110:111], v[189:190], v[191:192]
	s_waitcnt vmcnt(0)
	v_mul_f64 v[120:121], v[108:109], v[203:204]
	v_fma_f64 v[34:35], v[34:35], v[60:61], -v[114:115]
	v_mul_f64 v[110:111], v[14:15], v[203:204]
	v_fma_f64 v[24:25], v[24:25], v[189:190], -v[213:214]
	v_add_f64 v[114:115], v[146:147], v[42:43]
	v_mul_f64 v[199:200], v[0:1], v[199:200]
	v_fma_f64 v[176:177], v[16:17], s[8:9], -v[176:177]
	v_fma_f64 v[98:99], v[100:101], v[60:61], v[183:184]
	v_fma_f64 v[64:65], v[225:226], v[185:186], v[187:188]
	v_fma_f64 v[26:27], v[26:27], v[193:194], -v[219:220]
	v_fma_f64 v[180:181], v[102:103], s[14:15], -v[12:13]
	v_fma_f64 v[100:101], v[112:113], v[193:194], v[195:196]
	v_add_f64 v[12:13], v[80:81], v[62:63]
	v_add_f64 v[188:189], v[128:129], v[146:147]
	v_add_f64 v[192:193], v[68:69], -v[54:55]
	v_add_f64 v[112:113], v[38:39], v[132:133]
	v_add_f64 v[182:183], v[172:173], v[144:145]
	v_fma_f64 v[116:117], v[122:123], s[16:17], v[116:117]
	v_fma_f64 v[194:195], v[4:5], -0.5, v[142:143]
	v_fma_f64 v[123:124], v[0:1], v[197:198], -v[221:222]
	v_add_f64 v[0:1], v[38:39], -v[132:133]
	v_add_f64 v[190:191], v[104:105], v[84:85]
	v_fma_f64 v[14:15], v[14:15], v[201:202], -v[120:121]
	v_mov_b32_e32 v120, 0x320
	v_fma_f64 v[121:122], v[108:109], v[201:202], v[110:111]
	v_add_f64 v[109:110], v[104:105], -v[84:85]
	v_fma_f64 v[114:115], v[114:115], -0.5, v[128:129]
	v_add_f64 v[38:39], v[32:33], v[24:25]
	v_fma_f64 v[60:61], v[217:218], v[197:198], v[199:200]
	v_add_f64 v[196:197], v[32:33], -v[24:25]
	v_mov_b32_e32 v165, 3
	v_mul_u32_u24_sdwa v108, v168, v120 dst_sel:DWORD dst_unused:UNUSED_PAD src0_sel:WORD_0 src1_sel:DWORD
	v_add_f64 v[184:185], v[169:170], v[178:179]
	v_add_f64 v[186:187], v[174:175], v[176:177]
	v_fma_f64 v[132:133], v[12:13], -0.5, v[90:91]
	v_lshlrev_b32_sdwa v111, v165, v171 dst_sel:DWORD dst_unused:UNUSED_PAD src0_sel:DWORD src1_sel:BYTE_0
	s_barrier
	buffer_gl0_inv
	v_add_f64 v[198:199], v[146:147], -v[42:43]
	v_add3_u32 v108, 0, v108, v111
	v_add_f64 v[200:201], v[48:49], -v[52:53]
	v_fma_f64 v[202:203], v[192:193], s[0:1], v[194:195]
	v_fma_f64 v[190:191], v[190:191], -0.5, v[90:91]
	v_fma_f64 v[194:195], v[192:193], s[8:9], v[194:195]
	ds_write2_b64 v108, v[112:113], v[182:183] offset1:10
	v_add_f64 v[111:112], v[188:189], v[32:33]
	v_add_f64 v[182:183], v[92:93], -v[50:51]
	v_add_f64 v[188:189], v[94:95], -v[86:87]
	;; [unrolled: 1-line block ×5, first 2 shown]
	v_fma_f64 v[213:214], v[109:110], s[0:1], v[114:115]
	v_fma_f64 v[113:114], v[109:110], s[8:9], v[114:115]
	v_add_f64 v[217:218], v[92:93], v[94:95]
	v_fma_f64 v[38:39], v[38:39], -0.5, v[128:129]
	v_add_f64 v[215:216], v[104:105], -v[80:81]
	v_add_f64 v[219:220], v[84:85], -v[62:63]
	v_fma_f64 v[128:129], v[196:197], s[8:9], v[132:133]
	ds_write2_b64 v108, v[184:185], v[186:187] offset0:20 offset1:30
	v_add_f64 v[32:33], v[146:147], -v[32:33]
	v_add_f64 v[146:147], v[42:43], -v[24:25]
	;; [unrolled: 1-line block ×5, first 2 shown]
	v_fma_f64 v[184:185], v[198:199], s[0:1], v[190:191]
	v_fma_f64 v[186:187], v[200:201], s[6:7], v[194:195]
	v_add_f64 v[173:174], v[174:175], -v[176:177]
	v_add_f64 v[24:25], v[111:112], v[24:25]
	v_fma_f64 v[111:112], v[196:197], s[0:1], v[132:133]
	v_add_f64 v[132:133], v[182:183], v[188:189]
	v_fma_f64 v[182:183], v[200:201], s[14:15], v[202:203]
	v_add_f64 v[202:203], v[142:143], v[50:51]
	v_add_f64 v[175:176], v[98:99], v[100:101]
	;; [unrolled: 1-line block ×4, first 2 shown]
	v_fma_f64 v[194:195], v[204:205], s[14:15], v[213:214]
	v_fma_f64 v[113:114], v[204:205], s[6:7], v[113:114]
	v_fma_f64 v[206:207], v[217:218], -0.5, v[142:143]
	v_fma_f64 v[142:143], v[204:205], s[8:9], v[38:39]
	v_add_f64 v[168:169], v[169:170], -v[178:179]
	v_add_f64 v[115:116], v[116:117], -v[180:181]
	v_add_f64 v[177:178], v[76:77], v[121:122]
	v_add_f64 v[179:180], v[209:210], v[14:15]
	;; [unrolled: 1-line block ×3, first 2 shown]
	v_fma_f64 v[213:214], v[198:199], s[6:7], v[128:129]
	v_add_f64 v[215:216], v[34:35], v[26:27]
	v_add_f64 v[221:222], v[50:51], -v[92:93]
	v_add_f64 v[223:224], v[86:87], -v[94:95]
	v_add_f64 v[144:145], v[144:145], v[171:172]
	v_fma_f64 v[170:171], v[196:197], s[6:7], v[184:185]
	v_fma_f64 v[111:112], v[198:199], s[14:15], v[111:112]
	;; [unrolled: 1-line block ×3, first 2 shown]
	v_add_f64 v[32:33], v[32:33], v[146:147]
	v_fma_f64 v[146:147], v[132:133], s[16:17], v[186:187]
	v_add_f64 v[186:187], v[202:203], v[92:93]
	v_add_f64 v[202:203], v[209:210], -v[14:15]
	v_fma_f64 v[175:176], v[175:176], -0.5, v[82:83]
	v_add_f64 v[24:25], v[24:25], v[42:43]
	v_fma_f64 v[42:43], v[132:133], s[16:17], v[182:183]
	v_fma_f64 v[181:182], v[188:189], s[16:17], v[194:195]
	;; [unrolled: 1-line block ×4, first 2 shown]
	v_add_f64 v[188:189], v[98:99], -v[100:101]
	v_add_f64 v[204:205], v[34:35], -v[26:27]
	v_fma_f64 v[177:178], v[177:178], -0.5, v[82:83]
	v_fma_f64 v[179:180], v[179:180], -0.5, v[30:31]
	v_fma_f64 v[132:133], v[211:212], s[16:17], v[213:214]
	v_fma_f64 v[213:214], v[215:216], -0.5, v[30:31]
	v_add_f64 v[215:216], v[76:77], -v[121:122]
	v_add_f64 v[184:185], v[221:222], v[223:224]
	v_add_f64 v[217:218], v[88:89], v[123:124]
	v_fma_f64 v[142:143], v[144:145], s[16:17], v[170:171]
	v_fma_f64 v[170:171], v[198:199], s[8:9], v[190:191]
	;; [unrolled: 1-line block ×4, first 2 shown]
	v_add_f64 v[109:110], v[209:210], -v[34:35]
	v_add_f64 v[111:112], v[14:15], -v[26:27]
	;; [unrolled: 1-line block ×4, first 2 shown]
	v_add_f64 v[219:220], v[74:75], v[106:107]
	v_add_f64 v[223:224], v[76:77], -v[98:99]
	v_add_f64 v[225:226], v[121:122], -v[100:101]
	v_fma_f64 v[227:228], v[202:203], s[0:1], v[175:176]
	v_fma_f64 v[194:195], v[200:201], s[8:9], v[206:207]
	;; [unrolled: 1-line block ×3, first 2 shown]
	v_add_f64 v[113:114], v[98:99], -v[76:77]
	v_add_f64 v[229:230], v[100:101], -v[121:122]
	v_fma_f64 v[231:232], v[204:205], s[8:9], v[177:178]
	v_fma_f64 v[200:201], v[200:201], s[0:1], v[206:207]
	;; [unrolled: 1-line block ×4, first 2 shown]
	v_add_f64 v[30:31], v[30:31], v[209:210]
	v_fma_f64 v[177:178], v[204:205], s[0:1], v[177:178]
	v_mul_f64 v[235:236], v[142:143], s[14:15]
	v_fma_f64 v[175:176], v[202:203], s[8:9], v[175:176]
	v_fma_f64 v[170:171], v[196:197], s[14:15], v[170:171]
	;; [unrolled: 1-line block ×4, first 2 shown]
	v_add_f64 v[32:33], v[109:110], v[111:112]
	v_fma_f64 v[111:112], v[217:218], -0.5, v[140:141]
	v_add_f64 v[109:110], v[198:199], v[211:212]
	v_add_f64 v[179:180], v[72:73], -v[64:65]
	v_fma_f64 v[198:199], v[215:216], s[8:9], v[213:214]
	v_fma_f64 v[208:209], v[219:220], -0.5, v[140:141]
	v_add_f64 v[210:211], v[78:79], -v[60:61]
	v_add_f64 v[140:141], v[140:141], v[88:89]
	v_add_f64 v[212:213], v[223:224], v[225:226]
	v_fma_f64 v[217:218], v[204:205], s[6:7], v[227:228]
	v_add_f64 v[113:114], v[113:114], v[229:230]
	v_fma_f64 v[219:220], v[202:203], s[6:7], v[231:232]
	v_add_f64 v[229:230], v[88:89], -v[74:75]
	v_fma_f64 v[206:207], v[215:216], s[6:7], v[206:207]
	v_fma_f64 v[223:224], v[188:189], s[6:7], v[233:234]
	v_add_f64 v[231:232], v[123:124], -v[106:107]
	v_add_f64 v[30:31], v[30:31], v[34:35]
	v_fma_f64 v[227:228], v[221:222], s[18:19], v[235:236]
	v_add_f64 v[34:35], v[74:75], -v[88:89]
	v_add_f64 v[233:234], v[106:107], -v[123:124]
	v_fma_f64 v[177:178], v[202:203], s[14:15], v[177:178]
	v_fma_f64 v[38:39], v[215:216], s[14:15], v[38:39]
	;; [unrolled: 1-line block ×4, first 2 shown]
	v_mul_f64 v[225:226], v[128:129], s[16:17]
	v_fma_f64 v[235:236], v[179:180], s[0:1], v[111:112]
	v_fma_f64 v[111:112], v[179:180], s[8:9], v[111:112]
	;; [unrolled: 1-line block ×4, first 2 shown]
	v_add_f64 v[140:141], v[140:141], v[74:75]
	v_fma_f64 v[208:209], v[210:211], s[0:1], v[208:209]
	v_fma_f64 v[198:199], v[212:213], s[16:17], v[217:218]
	;; [unrolled: 1-line block ×4, first 2 shown]
	v_add_f64 v[218:219], v[2:3], v[6:7]
	v_fma_f64 v[204:205], v[109:110], s[16:17], v[206:207]
	v_fma_f64 v[206:207], v[32:33], s[16:17], v[223:224]
	v_add_f64 v[46:47], v[46:47], v[134:135]
	v_add_f64 v[223:224], v[130:131], v[58:59]
	;; [unrolled: 1-line block ×3, first 2 shown]
	v_mul_f64 v[196:197], v[132:133], s[8:9]
	v_fma_f64 v[170:171], v[144:145], s[16:17], v[170:171]
	v_mul_f64 v[144:145], v[237:238], s[18:19]
	v_add_f64 v[200:201], v[229:230], v[231:232]
	v_add_f64 v[26:27], v[30:31], v[26:27]
	;; [unrolled: 1-line block ×3, first 2 shown]
	v_fma_f64 v[177:178], v[113:114], s[16:17], v[177:178]
	v_fma_f64 v[34:35], v[210:211], s[14:15], v[235:236]
	;; [unrolled: 1-line block ×5, first 2 shown]
	v_add_f64 v[109:110], v[140:141], v[106:107]
	v_fma_f64 v[188:189], v[32:33], s[16:17], v[188:189]
	v_mul_f64 v[32:33], v[198:199], s[14:15]
	v_fma_f64 v[113:114], v[179:180], s[6:7], v[208:209]
	v_mul_f64 v[140:141], v[214:215], s[8:9]
	;; [unrolled: 2-line block ×3, first 2 shown]
	v_mul_f64 v[202:203], v[206:207], s[18:19]
	v_fma_f64 v[194:195], v[184:185], s[16:17], v[194:195]
	v_fma_f64 v[216:217], v[190:191], s[8:9], -v[225:226]
	v_add_f64 v[225:226], v[148:149], -v[36:37]
	v_fma_f64 v[218:219], v[218:219], -0.5, v[130:131]
	v_fma_f64 v[148:149], v[184:185], s[16:17], v[192:193]
	v_add_f64 v[46:47], v[46:47], v[126:127]
	v_add_f64 v[126:127], v[44:45], -v[40:41]
	v_add_f64 v[44:45], v[223:224], v[2:3]
	v_add_f64 v[183:184], v[58:59], v[10:11]
	;; [unrolled: 1-line block ×3, first 2 shown]
	v_fma_f64 v[196:197], v[181:182], s[16:17], v[196:197]
	v_fma_f64 v[144:145], v[170:171], s[14:15], -v[144:145]
	v_add_f64 v[14:15], v[26:27], v[14:15]
	v_fma_f64 v[26:27], v[30:31], s[16:17], v[34:35]
	v_add_f64 v[34:35], v[109:110], v[123:124]
	v_fma_f64 v[38:39], v[200:201], s[16:17], v[38:39]
	v_fma_f64 v[32:33], v[188:189], s[18:19], v[32:33]
	;; [unrolled: 1-line block ×5, first 2 shown]
	v_fma_f64 v[113:114], v[177:178], s[8:9], -v[179:180]
	v_fma_f64 v[140:141], v[175:176], s[14:15], -v[202:203]
	v_mul_u32_u24_sdwa v117, v162, v120 dst_sel:DWORD dst_unused:UNUSED_PAD src0_sel:WORD_0 src1_sel:DWORD
	v_lshlrev_b32_sdwa v120, v165, v163 dst_sel:DWORD dst_unused:UNUSED_PAD src0_sel:DWORD src1_sel:BYTE_0
	v_add_f64 v[40:41], v[58:59], -v[2:3]
	v_add_f64 v[162:163], v[10:11], -v[6:7]
	v_fma_f64 v[179:180], v[225:226], s[0:1], v[218:219]
	v_add_f64 v[18:19], v[46:47], v[18:19]
	v_add_f64 v[134:135], v[194:195], v[227:228]
	;; [unrolled: 1-line block ×3, first 2 shown]
	v_fma_f64 v[46:47], v[183:184], -0.5, v[130:131]
	v_add_f64 v[208:209], v[186:187], v[24:25]
	v_add_f64 v[212:213], v[42:43], v[196:197]
	;; [unrolled: 1-line block ×3, first 2 shown]
	v_add_f64 v[24:25], v[186:187], -v[24:25]
	v_add_f64 v[192:193], v[148:149], v[144:145]
	v_add_f64 v[185:186], v[194:195], -v[227:228]
	v_add_f64 v[42:43], v[42:43], -v[196:197]
	;; [unrolled: 1-line block ×4, first 2 shown]
	v_add_f64 v[148:149], v[34:35], v[14:15]
	v_add_f64 v[14:15], v[34:35], -v[14:15]
	v_add_f64 v[34:35], v[38:39], v[32:33]
	v_add_f64 v[32:33], v[38:39], -v[32:33]
	;; [unrolled: 2-line block ×3, first 2 shown]
	v_add_f64 v[109:110], v[30:31], v[113:114]
	v_add_f64 v[194:195], v[111:112], v[140:141]
	v_add_f64 v[30:31], v[30:31], -v[113:114]
	v_add_f64 v[111:112], v[111:112], -v[140:141]
	v_add3_u32 v125, 0, v117, v120
	v_add_f64 v[196:197], v[40:41], v[162:163]
	v_fma_f64 v[40:41], v[126:127], s[6:7], v[179:180]
	ds_write2_b64 v108, v[4:5], v[0:1] offset0:40 offset1:50
	ds_write2_b64 v108, v[12:13], v[168:169] offset0:60 offset1:70
	;; [unrolled: 1-line block ×3, first 2 shown]
	ds_write2_b64 v125, v[208:209], v[134:135] offset1:10
	v_add_f64 v[168:169], v[44:45], v[10:11]
	v_add_f64 v[0:1], v[2:3], -v[58:59]
	v_add_f64 v[2:3], v[6:7], -v[10:11]
	v_fma_f64 v[4:5], v[126:127], s[8:9], v[46:47]
	v_fma_f64 v[10:11], v[126:127], s[0:1], v[46:47]
	v_add_f64 v[179:180], v[68:69], v[54:55]
	v_add_f64 v[183:184], v[48:49], v[52:53]
	v_mul_u32_u24_e32 v113, 0x320, v166
	v_lshlrev_b32_sdwa v114, v165, v167 dst_sel:DWORD dst_unused:UNUSED_PAD src0_sel:DWORD src1_sel:WORD_0
	v_add_f64 v[200:201], v[72:73], v[64:65]
	v_add_f64 v[50:51], v[50:51], -v[86:87]
	v_add_f64 v[92:93], v[92:93], -v[94:95]
	v_add_f64 v[80:81], v[90:91], v[80:81]
	v_add3_u32 v174, 0, v113, v114
	ds_write2_b64 v125, v[212:213], v[36:37] offset0:20 offset1:30
	ds_write2_b64 v125, v[192:193], v[24:25] offset0:40 offset1:50
	;; [unrolled: 1-line block ×4, first 2 shown]
	ds_write2_b64 v174, v[148:149], v[34:35] offset1:10
	ds_write2_b64 v174, v[38:39], v[109:110] offset0:20 offset1:30
	ds_write2_b64 v174, v[194:195], v[14:15] offset0:40 offset1:50
	;; [unrolled: 1-line block ×4, first 2 shown]
	v_mul_f64 v[192:193], v[16:17], s[16:17]
	v_fma_f64 v[194:195], v[225:226], s[8:9], v[218:219]
	v_add_f64 v[212:213], v[78:79], v[60:61]
	v_mul_f64 v[14:15], v[20:21], s[0:1]
	v_add_f64 v[88:89], v[88:89], -v[123:124]
	v_add_f64 v[74:75], v[74:75], -v[106:107]
	v_add_f64 v[76:77], v[82:83], v[76:77]
	v_mul_f64 v[102:103], v[102:103], s[18:19]
	v_add_f64 v[106:107], v[48:49], -v[68:69]
	v_add_f64 v[172:173], v[0:1], v[2:3]
	v_fma_f64 v[12:13], v[225:226], s[6:7], v[4:5]
	v_fma_f64 v[185:186], v[225:226], s[14:15], v[10:11]
	v_fma_f64 v[86:87], v[179:180], -0.5, v[70:71]
	v_add_f64 v[179:180], v[70:71], v[48:49]
	v_fma_f64 v[70:71], v[183:184], -0.5, v[70:71]
	v_add_f64 v[48:49], v[68:69], -v[48:49]
	v_fma_f64 v[123:124], v[200:201], -0.5, v[56:57]
	v_add_f64 v[130:131], v[18:19], v[118:119]
	v_fma_f64 v[58:59], v[196:197], s[16:17], v[40:41]
	v_add_f64 v[80:81], v[80:81], v[104:105]
	v_mul_f64 v[28:29], v[28:29], s[6:7]
	v_mul_f64 v[170:171], v[170:171], s[18:19]
	v_fma_f64 v[94:95], v[96:97], s[0:1], -v[192:193]
	v_fma_f64 v[96:97], v[126:127], s[14:15], v[194:195]
	v_add_f64 v[126:127], v[56:57], v[78:79]
	v_fma_f64 v[56:57], v[212:213], -0.5, v[56:57]
	v_fma_f64 v[218:219], v[8:9], s[16:17], v[14:15]
	v_add_f64 v[192:193], v[78:79], -v[72:73]
	v_add_f64 v[194:195], v[60:61], -v[64:65]
	v_add_f64 v[76:77], v[76:77], v[98:99]
	v_fma_f64 v[66:67], v[66:67], s[6:7], -v[102:103]
	v_add_nc_u32_e32 v140, 0x4c00, v157
	v_fma_f64 v[216:217], v[172:173], s[16:17], v[12:13]
	v_fma_f64 v[90:91], v[172:173], s[16:17], v[185:186]
	v_add_f64 v[172:173], v[52:53], -v[54:55]
	v_fma_f64 v[183:184], v[50:51], s[0:1], v[86:87]
	v_add_f64 v[179:180], v[179:180], v[68:69]
	v_fma_f64 v[86:87], v[50:51], s[8:9], v[86:87]
	v_add_f64 v[68:69], v[54:55], -v[52:53]
	v_fma_f64 v[185:186], v[92:93], s[8:9], v[70:71]
	v_fma_f64 v[70:71], v[92:93], s[0:1], v[70:71]
	v_add_f64 v[80:81], v[80:81], v[84:85]
	v_mul_f64 v[84:85], v[181:182], s[0:1]
	v_add_f64 v[202:203], v[168:169], v[130:131]
	v_add_f64 v[98:99], v[168:169], -v[130:131]
	v_fma_f64 v[96:97], v[196:197], s[16:17], v[96:97]
	v_fma_f64 v[196:197], v[88:89], s[0:1], v[123:124]
	v_add_f64 v[126:127], v[126:127], v[72:73]
	v_add_f64 v[72:73], v[72:73], -v[78:79]
	v_add_f64 v[78:79], v[64:65], -v[60:61]
	v_fma_f64 v[200:201], v[74:75], s[8:9], v[56:57]
	v_fma_f64 v[56:57], v[74:75], s[0:1], v[56:57]
	v_fma_f64 v[123:124], v[88:89], s[8:9], v[123:124]
	v_add_f64 v[130:131], v[192:193], v[194:195]
	v_add_f64 v[82:83], v[216:217], v[218:219]
	v_add_f64 v[104:105], v[90:91], v[94:95]
	v_add_f64 v[102:103], v[106:107], v[172:173]
	v_fma_f64 v[106:107], v[92:93], s[6:7], v[183:184]
	v_add_f64 v[54:55], v[179:180], v[54:55]
	v_fma_f64 v[86:87], v[92:93], s[14:15], v[86:87]
	v_add_f64 v[48:49], v[48:49], v[68:69]
	v_fma_f64 v[68:69], v[50:51], s[6:7], v[185:186]
	v_fma_f64 v[50:51], v[50:51], s[14:15], v[70:71]
	v_mul_f64 v[70:71], v[221:222], s[6:7]
	v_mul_f64 v[92:93], v[190:191], s[16:17]
	v_add_f64 v[76:77], v[76:77], v[100:101]
	v_mul_f64 v[100:101], v[210:211], s[0:1]
	v_fma_f64 v[166:167], v[22:23], s[18:19], v[28:29]
	v_fma_f64 v[168:169], v[74:75], s[6:7], v[196:197]
	v_add_f64 v[64:65], v[126:127], v[64:65]
	v_mul_f64 v[126:127], v[177:178], s[16:17]
	v_add_f64 v[72:73], v[72:73], v[78:79]
	v_fma_f64 v[78:79], v[88:89], s[6:7], v[200:201]
	v_fma_f64 v[56:57], v[88:89], s[14:15], v[56:57]
	v_mul_f64 v[88:89], v[188:189], s[6:7]
	v_fma_f64 v[74:75], v[74:75], s[14:15], v[123:124]
	v_mul_f64 v[123:124], v[175:176], s[18:19]
	v_add_f64 v[172:173], v[96:97], v[66:67]
	v_add_nc_u32_e32 v147, 0x1800, v157
	v_add_nc_u32_e32 v149, 0x6400, v157
	v_add_nc_u32_e32 v162, 0x3000, v157
	v_lshl_add_u32 v141, v153, 3, 0
	v_add_nc_u32_e32 v146, 0x4400, v157
	v_add_nc_u32_e32 v148, 0x3c00, v157
	;; [unrolled: 1-line block ×7, first 2 shown]
	s_waitcnt lgkmcnt(0)
	s_barrier
	buffer_gl0_inv
	ds_read_b64 v[119:120], v157
	ds_read_b64 v[117:118], v160
	;; [unrolled: 1-line block ×5, first 2 shown]
	ds_read_b64 v[115:116], v157 offset:27840
	ds_read2_b64 v[44:47], v134 offset0:88 offset1:208
	ds_read2_b64 v[4:7], v145 offset0:56 offset1:176
	;; [unrolled: 1-line block ×12, first 2 shown]
	s_waitcnt lgkmcnt(0)
	s_barrier
	buffer_gl0_inv
	v_add_f64 v[52:53], v[54:55], v[52:53]
	v_fma_f64 v[68:69], v[48:49], s[16:17], v[68:69]
	v_add_f64 v[62:63], v[80:81], v[62:63]
	v_fma_f64 v[48:49], v[48:49], s[16:17], v[50:51]
	v_fma_f64 v[50:51], v[142:143], s[18:19], v[70:71]
	;; [unrolled: 1-line block ×3, first 2 shown]
	ds_write2_b64 v108, v[82:83], v[104:105] offset0:20 offset1:30
	v_fma_f64 v[82:83], v[102:103], s[16:17], v[86:87]
	v_fma_f64 v[84:85], v[237:238], s[6:7], -v[170:171]
	v_fma_f64 v[54:55], v[102:103], s[16:17], v[106:107]
	v_fma_f64 v[80:81], v[128:129], s[0:1], -v[92:93]
	v_add_f64 v[60:61], v[64:65], v[60:61]
	v_fma_f64 v[64:65], v[130:131], s[16:17], v[168:169]
	v_fma_f64 v[78:79], v[72:73], s[16:17], v[78:79]
	v_add_f64 v[76:77], v[76:77], v[121:122]
	v_fma_f64 v[56:57], v[72:73], s[16:17], v[56:57]
	v_fma_f64 v[72:73], v[198:199], s[18:19], v[88:89]
	;; [unrolled: 1-line block ×4, first 2 shown]
	v_fma_f64 v[92:93], v[206:207], s[6:7], -v[123:124]
	v_add_f64 v[208:209], v[58:59], v[166:167]
	v_fma_f64 v[88:89], v[204:205], s[0:1], -v[126:127]
	ds_write2_b64 v108, v[172:173], v[98:99] offset0:40 offset1:50
	v_add_f64 v[58:59], v[58:59], -v[166:167]
	v_add_f64 v[98:99], v[216:217], -v[218:219]
	;; [unrolled: 1-line block ×4, first 2 shown]
	v_add_f64 v[94:95], v[52:53], v[62:63]
	v_add_f64 v[52:53], v[52:53], -v[62:63]
	v_add_f64 v[100:101], v[68:69], v[70:71]
	v_add_f64 v[62:63], v[82:83], v[84:85]
	;; [unrolled: 1-line block ×3, first 2 shown]
	v_add_f64 v[50:51], v[54:55], -v[50:51]
	v_add_f64 v[54:55], v[68:69], -v[70:71]
	v_add_f64 v[102:103], v[48:49], v[80:81]
	v_add_f64 v[48:49], v[48:49], -v[80:81]
	v_add_f64 v[68:69], v[82:83], -v[84:85]
	v_add_f64 v[70:71], v[60:61], v[76:77]
	v_add_f64 v[60:61], v[60:61], -v[76:77]
	v_add_f64 v[76:77], v[64:65], v[72:73]
	v_add_f64 v[80:81], v[78:79], v[86:87]
	v_add_f64 v[64:65], v[64:65], -v[72:73]
	v_add_f64 v[72:73], v[78:79], -v[86:87]
	v_add_f64 v[78:79], v[74:75], v[92:93]
	v_add_f64 v[82:83], v[56:57], v[88:89]
	v_cmp_gt_u32_e64 s0, 0x64, v150
	ds_write2_b64 v108, v[58:59], v[98:99] offset0:60 offset1:70
	v_mul_lo_u16 v58, v164, 41
	v_add_nc_u32_e32 v59, 0xffffff9c, v150
	v_add_f64 v[56:57], v[56:57], -v[88:89]
	v_add_f64 v[74:75], v[74:75], -v[92:93]
	ds_write2_b64 v108, v[202:203], v[208:209] offset1:10
	v_lshrrev_b16 v133, 12, v58
	v_cndmask_b32_e64 v168, v59, v150, s0
	ds_write2_b64 v108, v[90:91], v[66:67] offset0:80 offset1:90
	ds_write2_b64 v125, v[94:95], v[96:97] offset1:10
	ds_write2_b64 v125, v[100:101], v[102:103] offset0:20 offset1:30
	ds_write2_b64 v125, v[62:63], v[52:53] offset0:40 offset1:50
	;; [unrolled: 1-line block ×4, first 2 shown]
	v_mul_lo_u16 v48, 0x64, v133
	v_mul_i32_i24_e32 v107, 5, v168
	v_mov_b32_e32 v108, 0
	ds_write2_b64 v174, v[70:71], v[76:77] offset1:10
	ds_write2_b64 v174, v[80:81], v[82:83] offset0:20 offset1:30
	v_sub_nc_u16 v142, v152, v48
	v_lshlrev_b64 v[48:49], 4, v[107:108]
	ds_write2_b64 v174, v[78:79], v[60:61] offset0:40 offset1:50
	ds_write2_b64 v174, v[64:65], v[72:73] offset0:60 offset1:70
	;; [unrolled: 1-line block ×3, first 2 shown]
	v_mov_b32_e32 v66, 5
	s_waitcnt lgkmcnt(0)
	v_add_co_u32 v64, s0, s12, v48
	v_add_co_ci_u32_e64 v65, s0, s13, v49, s0
	s_barrier
	buffer_gl0_inv
	v_lshrrev_b16 v49, 2, v154
	global_load_dwordx4 v[121:124], v[64:65], off offset:1440
	v_mov_b32_e32 v67, 0x147b
	v_mul_u32_u24_sdwa v50, v142, v66 dst_sel:DWORD dst_unused:UNUSED_PAD src0_sel:BYTE_0 src1_sel:DWORD
	s_mov_b32 s6, 0xe8584caa
	s_mov_b32 s7, 0x3febb67a
	;; [unrolled: 1-line block ×3, first 2 shown]
	v_mul_u32_u24_sdwa v49, v49, v67 dst_sel:DWORD dst_unused:UNUSED_PAD src0_sel:WORD_0 src1_sel:DWORD
	v_lshlrev_b32_e32 v48, 4, v50
	s_clause 0x1
	global_load_dwordx4 v[125:128], v48, s[12:13] offset:1440
	global_load_dwordx4 v[129:132], v[64:65], off offset:1472
	v_lshrrev_b32_e32 v143, 17, v49
	s_clause 0x2
	global_load_dwordx4 v[171:174], v48, s[12:13] offset:1472
	global_load_dwordx4 v[179:182], v48, s[12:13] offset:1504
	global_load_dwordx4 v[175:178], v[64:65], off offset:1504
	v_lshrrev_b16 v50, 2, v151
	v_mul_lo_u16 v49, 0x64, v143
	s_mov_b32 s8, s6
	v_cmp_lt_u32_e64 s0, 0x63, v150
	v_lshlrev_b32_e32 v168, 3, v168
	v_sub_nc_u16 v167, v154, v49
	v_mul_u32_u24_sdwa v49, v50, v67 dst_sel:DWORD dst_unused:UNUSED_PAD src0_sel:WORD_0 src1_sel:DWORD
	v_mul_u32_u24_sdwa v50, v167, v66 dst_sel:DWORD dst_unused:UNUSED_PAD src0_sel:WORD_0 src1_sel:DWORD
	v_lshrrev_b32_e32 v164, 17, v49
	v_lshlrev_b32_e32 v72, 4, v50
	s_clause 0x1
	global_load_dwordx4 v[183:186], v48, s[12:13] offset:1456
	global_load_dwordx4 v[60:63], v72, s[12:13] offset:1456
	v_mul_lo_u16 v49, 0x64, v164
	global_load_dwordx4 v[56:59], v48, s[12:13] offset:1488
	v_sub_nc_u16 v166, v151, v49
	s_clause 0x1
	global_load_dwordx4 v[52:55], v72, s[12:13] offset:1488
	global_load_dwordx4 v[48:51], v72, s[12:13] offset:1440
	v_mul_u32_u24_sdwa v68, v166, v66 dst_sel:DWORD dst_unused:UNUSED_PAD src0_sel:WORD_0 src1_sel:DWORD
	v_lshlrev_b32_e32 v76, 4, v68
	s_clause 0x3
	global_load_dwordx4 v[68:71], v[64:65], off offset:1456
	global_load_dwordx4 v[100:103], v[64:65], off offset:1488
	global_load_dwordx4 v[187:190], v76, s[12:13] offset:1440
	global_load_dwordx4 v[191:194], v72, s[12:13] offset:1472
	v_lshrrev_b16 v64, 2, v153
	s_clause 0x1
	global_load_dwordx4 v[195:198], v76, s[12:13] offset:1472
	global_load_dwordx4 v[104:107], v72, s[12:13] offset:1504
	v_mul_u32_u24_sdwa v64, v64, v67 dst_sel:DWORD dst_unused:UNUSED_PAD src0_sel:WORD_0 src1_sel:DWORD
	v_lshrrev_b32_e32 v169, 17, v64
	v_mul_lo_u16 v64, 0x64, v169
	v_sub_nc_u16 v170, v153, v64
	v_mul_u32_u24_sdwa v64, v170, v66 dst_sel:DWORD dst_unused:UNUSED_PAD src0_sel:WORD_0 src1_sel:DWORD
	v_lshlrev_b32_e32 v64, 4, v64
	s_clause 0x7
	global_load_dwordx4 v[96:99], v76, s[12:13] offset:1504
	global_load_dwordx4 v[92:95], v64, s[12:13] offset:1440
	;; [unrolled: 1-line block ×8, first 2 shown]
	ds_read2_b64 v[199:202], v134 offset0:88 offset1:208
	ds_read2_b64 v[203:206], v159 offset0:8 offset1:128
	;; [unrolled: 1-line block ×4, first 2 shown]
	s_waitcnt vmcnt(24) lgkmcnt(3)
	v_mul_f64 v[215:216], v[199:200], v[123:124]
	v_mul_f64 v[123:124], v[44:45], v[123:124]
	s_waitcnt vmcnt(23)
	v_mul_f64 v[219:220], v[201:202], v[127:128]
	v_mul_f64 v[127:128], v[46:47], v[127:128]
	s_waitcnt vmcnt(22) lgkmcnt(2)
	v_mul_f64 v[221:222], v[203:204], v[131:132]
	v_mul_f64 v[223:224], v[40:41], v[131:132]
	s_waitcnt vmcnt(21)
	v_mul_f64 v[227:228], v[205:206], v[173:174]
	s_waitcnt vmcnt(19)
	v_mul_f64 v[231:232], v[36:37], v[177:178]
	s_waitcnt lgkmcnt(1)
	v_mul_f64 v[177:178], v[207:208], v[177:178]
	v_mul_f64 v[173:174], v[42:43], v[173:174]
	v_fma_f64 v[233:234], v[44:45], v[121:122], -v[215:216]
	ds_read2_b64 v[215:218], v140 offset0:88 offset1:208
	v_fma_f64 v[121:122], v[199:200], v[121:122], v[123:124]
	v_mul_f64 v[123:124], v[209:210], v[181:182]
	v_fma_f64 v[131:132], v[46:47], v[125:126], -v[219:220]
	v_fma_f64 v[44:45], v[201:202], v[125:126], v[127:128]
	v_fma_f64 v[235:236], v[40:41], v[129:130], -v[221:222]
	v_mul_f64 v[125:126], v[38:39], v[181:182]
	v_fma_f64 v[46:47], v[203:204], v[129:130], v[223:224]
	s_waitcnt vmcnt(18) lgkmcnt(1)
	v_mul_f64 v[127:128], v[211:212], v[185:186]
	v_mul_f64 v[129:130], v[32:33], v[185:186]
	s_waitcnt vmcnt(17)
	v_mul_f64 v[185:186], v[213:214], v[62:63]
	ds_read2_b64 v[199:202], v147 offset0:72 offset1:192
	ds_read2_b64 v[219:222], v145 offset0:56 offset1:176
	;; [unrolled: 1-line block ×3, first 2 shown]
	v_fma_f64 v[181:182], v[42:43], v[171:172], -v[227:228]
	ds_read2_b64 v[227:230], v148 offset0:120 offset1:240
	v_fma_f64 v[42:43], v[207:208], v[175:176], v[231:232]
	v_fma_f64 v[175:176], v[36:37], v[175:176], -v[177:178]
	s_waitcnt vmcnt(16) lgkmcnt(4)
	v_mul_f64 v[177:178], v[215:216], v[58:59]
	v_mul_f64 v[58:59], v[28:29], v[58:59]
	v_fma_f64 v[40:41], v[205:206], v[171:172], v[173:174]
	ds_read2_b64 v[171:174], v149 offset0:40 offset1:160
	v_mul_f64 v[203:204], v[34:35], v[62:63]
	s_waitcnt vmcnt(15)
	v_mul_f64 v[205:206], v[217:218], v[54:55]
	s_waitcnt vmcnt(14)
	v_mul_f64 v[231:232], v[24:25], v[50:51]
	v_mul_f64 v[54:55], v[30:31], v[54:55]
	v_fma_f64 v[36:37], v[209:210], v[179:180], v[125:126]
	v_fma_f64 v[32:33], v[32:33], v[183:184], -v[127:128]
	s_waitcnt lgkmcnt(4)
	v_mul_f64 v[207:208], v[199:200], v[50:51]
	v_fma_f64 v[50:51], v[38:39], v[179:180], -v[123:124]
	s_waitcnt vmcnt(13) lgkmcnt(3)
	v_mul_f64 v[237:238], v[221:222], v[70:71]
	s_waitcnt vmcnt(12) lgkmcnt(2)
	v_mul_f64 v[179:180], v[225:226], v[102:103]
	;; [unrolled: 2-line block ×3, first 2 shown]
	v_fma_f64 v[62:63], v[34:35], v[60:61], -v[185:186]
	s_waitcnt vmcnt(9)
	v_mul_f64 v[185:186], v[229:230], v[197:198]
	v_mul_f64 v[209:210], v[201:202], v[189:190]
	;; [unrolled: 1-line block ×3, first 2 shown]
	v_fma_f64 v[38:39], v[211:212], v[183:184], v[129:130]
	v_add_f64 v[183:184], v[46:47], v[42:43]
	v_mul_f64 v[193:194], v[20:21], v[193:194]
	v_fma_f64 v[125:126], v[28:29], v[56:57], -v[177:178]
	v_fma_f64 v[129:130], v[215:216], v[56:57], v[58:59]
	s_waitcnt vmcnt(8) lgkmcnt(0)
	v_mul_f64 v[56:57], v[171:172], v[106:107]
	v_mul_f64 v[197:198], v[22:23], v[197:198]
	v_fma_f64 v[123:124], v[30:31], v[52:53], -v[205:206]
	v_fma_f64 v[34:35], v[217:218], v[52:53], v[54:55]
	ds_read2_b64 v[52:55], v162 offset0:24 offset1:144
	v_fma_f64 v[60:61], v[213:214], v[60:61], v[203:204]
	v_fma_f64 v[58:59], v[24:25], v[48:49], -v[207:208]
	v_fma_f64 v[24:25], v[199:200], v[48:49], v[231:232]
	v_fma_f64 v[28:29], v[6:7], v[68:69], -v[237:238]
	v_add_f64 v[48:49], v[235:236], v[175:176]
	v_fma_f64 v[30:31], v[2:3], v[100:101], -v[179:180]
	v_fma_f64 v[179:180], v[20:21], v[191:192], -v[239:240]
	v_mul_f64 v[6:7], v[6:7], v[70:71]
	v_mul_f64 v[20:21], v[2:3], v[102:103]
	v_fma_f64 v[22:23], v[22:23], v[195:196], -v[185:186]
	v_mul_f64 v[102:103], v[16:17], v[106:107]
	v_add_f64 v[185:186], v[40:41], v[36:37]
	v_fma_f64 v[177:178], v[26:27], v[187:188], -v[209:210]
	v_fma_f64 v[127:128], v[201:202], v[187:188], v[189:190]
	v_add_f64 v[187:188], v[235:236], -v[175:176]
	v_fma_f64 v[183:184], v[183:184], -0.5, v[121:122]
	s_waitcnt vmcnt(7)
	v_mul_f64 v[106:107], v[173:174], v[98:99]
	v_fma_f64 v[26:27], v[227:228], v[191:192], v[193:194]
	v_fma_f64 v[56:57], v[16:17], v[104:105], -v[56:57]
	v_mul_f64 v[16:17], v[18:19], v[98:99]
	s_waitcnt vmcnt(6)
	v_mul_f64 v[98:99], v[219:220], v[94:95]
	v_mul_f64 v[94:95], v[4:5], v[94:95]
	s_waitcnt vmcnt(5)
	v_mul_f64 v[191:192], v[12:13], v[90:91]
	v_fma_f64 v[70:71], v[229:230], v[195:196], v[197:198]
	s_waitcnt lgkmcnt(0)
	v_mul_f64 v[189:190], v[52:53], v[90:91]
	s_waitcnt vmcnt(4)
	v_mul_f64 v[193:194], v[54:55], v[86:87]
	v_fma_f64 v[48:49], v[48:49], -0.5, v[233:234]
	v_add_f64 v[195:196], v[28:29], v[30:31]
	v_add_f64 v[197:198], v[46:47], -v[42:43]
	v_fma_f64 v[199:200], v[221:222], v[68:69], v[6:7]
	v_fma_f64 v[6:7], v[225:226], v[100:101], v[20:21]
	v_mul_f64 v[100:101], v[14:15], v[86:87]
	v_fma_f64 v[68:69], v[171:172], v[104:105], v[102:103]
	v_add_f64 v[102:103], v[181:182], v[50:51]
	v_add_f64 v[104:105], v[181:182], -v[50:51]
	v_fma_f64 v[171:172], v[185:186], -0.5, v[44:45]
	s_waitcnt vmcnt(3)
	v_mul_f64 v[185:186], v[223:224], v[74:75]
	v_fma_f64 v[2:3], v[187:188], s[8:9], v[183:184]
	v_fma_f64 v[106:107], v[18:19], v[96:97], -v[106:107]
	ds_read2_b64 v[18:21], v163 offset0:72 offset1:192
	v_fma_f64 v[183:184], v[187:188], s[6:7], v[183:184]
	v_fma_f64 v[86:87], v[173:174], v[96:97], v[16:17]
	v_fma_f64 v[4:5], v[4:5], v[92:93], -v[98:99]
	v_fma_f64 v[90:91], v[219:220], v[92:93], v[94:95]
	v_fma_f64 v[94:95], v[52:53], v[88:89], v[191:192]
	ds_read_b64 v[52:53], v157 offset:27840
	v_add_f64 v[16:17], v[233:234], v[235:236]
	v_fma_f64 v[92:93], v[12:13], v[88:89], -v[189:190]
	v_fma_f64 v[88:89], v[14:15], v[84:85], -v[193:194]
	v_fma_f64 v[12:13], v[195:196], -0.5, v[119:120]
	v_add_f64 v[14:15], v[119:120], v[28:29]
	v_fma_f64 v[119:120], v[197:198], s[8:9], v[48:49]
	v_fma_f64 v[48:49], v[197:198], s[6:7], v[48:49]
	;; [unrolled: 1-line block ×3, first 2 shown]
	v_add_f64 v[54:55], v[32:33], v[125:126]
	v_fma_f64 v[100:101], v[102:103], -0.5, v[131:132]
	v_add_f64 v[102:103], v[40:41], -v[36:37]
	v_fma_f64 v[96:97], v[104:105], s[8:9], v[171:172]
	v_add_f64 v[173:174], v[199:200], -v[6:7]
	v_mul_f64 v[98:99], v[2:3], s[6:7]
	v_mul_f64 v[189:190], v[0:1], v[74:75]
	v_fma_f64 v[0:1], v[0:1], v[72:73], -v[185:186]
	s_waitcnt vmcnt(2) lgkmcnt(1)
	v_mul_f64 v[185:186], v[18:19], v[78:79]
	v_mul_f64 v[191:192], v[8:9], v[78:79]
	s_waitcnt vmcnt(1)
	v_mul_f64 v[193:194], v[20:21], v[82:83]
	v_mul_f64 v[195:196], v[10:11], v[82:83]
	s_waitcnt vmcnt(0)
	v_mul_f64 v[197:198], v[115:116], v[66:67]
	s_waitcnt lgkmcnt(0)
	v_mul_f64 v[203:204], v[52:53], v[66:67]
	v_add_f64 v[175:176], v[16:17], v[175:176]
	v_add_f64 v[131:132], v[131:132], v[181:182]
	v_add_f64 v[209:210], v[38:39], -v[129:130]
	v_fma_f64 v[104:105], v[104:105], s[6:7], v[171:172]
	v_add_f64 v[14:15], v[14:15], v[30:31]
	v_mul_f64 v[187:188], v[119:120], -0.5
	ds_read_b64 v[74:75], v141
	ds_read_b64 v[78:79], v158
	;; [unrolled: 1-line block ×3, first 2 shown]
	v_add_f64 v[46:47], v[121:122], v[46:47]
	v_fma_f64 v[54:55], v[54:55], -0.5, v[117:118]
	v_add_f64 v[117:118], v[117:118], v[32:33]
	v_fma_f64 v[16:17], v[102:103], s[6:7], v[100:101]
	v_mul_f64 v[181:182], v[96:97], s[6:7]
	v_fma_f64 v[207:208], v[173:174], s[6:7], v[12:13]
	v_fma_f64 v[205:206], v[48:49], 0.5, v[98:99]
	v_fma_f64 v[82:83], v[223:224], v[72:73], v[189:190]
	v_fma_f64 v[12:13], v[173:174], s[8:9], v[12:13]
	v_fma_f64 v[98:99], v[8:9], v[76:77], -v[185:186]
	v_fma_f64 v[72:73], v[18:19], v[76:77], v[191:192]
	v_fma_f64 v[76:77], v[10:11], v[80:81], -v[193:194]
	v_fma_f64 v[66:67], v[20:21], v[80:81], v[195:196]
	v_fma_f64 v[80:81], v[52:53], v[64:65], v[197:198]
	v_fma_f64 v[10:11], v[115:116], v[64:65], -v[203:204]
	v_add_f64 v[8:9], v[26:27], v[68:69]
	v_fma_f64 v[100:101], v[102:103], s[8:9], v[100:101]
	v_add_f64 v[102:103], v[179:180], v[56:57]
	v_add_f64 v[173:174], v[70:71], v[86:87]
	;; [unrolled: 1-line block ×3, first 2 shown]
	v_fma_f64 v[18:19], v[183:184], s[6:7], v[187:188]
	v_add_f64 v[50:51], v[131:132], v[50:51]
	v_cndmask_b32_e64 v185, 0, 0x12c0, s0
	v_fma_f64 v[131:132], v[209:210], s[6:7], v[54:55]
	v_add_f64 v[115:116], v[117:118], v[125:126]
	v_add_f64 v[189:190], v[179:180], -v[56:57]
	v_fma_f64 v[117:118], v[16:17], 0.5, v[181:182]
	v_add_f64 v[181:182], v[22:23], v[106:107]
	v_add_f64 v[52:53], v[207:208], v[205:206]
	v_add3_u32 v64, 0, v185, v168
	v_add_f64 v[14:15], v[14:15], -v[175:176]
	v_add_f64 v[195:196], v[207:208], -v[205:206]
	;; [unrolled: 1-line block ×5, first 2 shown]
	v_add_f64 v[191:192], v[82:83], v[80:81]
	v_add_f64 v[193:194], v[0:1], v[10:11]
	v_fma_f64 v[8:9], v[8:9], -0.5, v[24:25]
	v_mul_f64 v[171:172], v[100:101], -0.5
	v_fma_f64 v[102:103], v[102:103], -0.5, v[58:59]
	v_fma_f64 v[173:174], v[173:174], -0.5, v[127:128]
	ds_read_b64 v[185:186], v160
	ds_read_b64 v[187:188], v161
	v_add_f64 v[175:176], v[12:13], v[18:19]
	v_add_f64 v[12:13], v[12:13], -v[18:19]
	s_waitcnt lgkmcnt(0)
	s_barrier
	buffer_gl0_inv
	v_add_f64 v[18:19], v[115:116], v[50:51]
	v_add_f64 v[205:206], v[131:132], v[117:118]
	v_fma_f64 v[181:182], v[181:182], -0.5, v[177:178]
	ds_write2_b64 v64, v[20:21], v[52:53] offset1:100
	v_add_f64 v[20:21], v[62:63], v[123:124]
	v_add_f64 v[52:53], v[0:1], -v[10:11]
	v_add_f64 v[213:214], v[82:83], -v[80:81]
	v_mov_b32_e32 v65, 0x12c0
	v_add_nc_u32_e32 v217, 0x400, v64
	v_add_nc_u32_e32 v218, 0x800, v64
	v_fma_f64 v[191:192], v[191:192], -0.5, v[90:91]
	v_fma_f64 v[193:194], v[193:194], -0.5, v[4:5]
	v_mul_u32_u24_sdwa v65, v133, v65 dst_sel:DWORD dst_unused:UNUSED_PAD src0_sel:WORD_0 src1_sel:DWORD
	v_lshlrev_b32_sdwa v133, v165, v142 dst_sel:DWORD dst_unused:UNUSED_PAD src0_sel:DWORD src1_sel:BYTE_0
	v_fma_f64 v[211:212], v[189:190], s[8:9], v[8:9]
	v_fma_f64 v[54:55], v[209:210], s[8:9], v[54:55]
	;; [unrolled: 1-line block ×4, first 2 shown]
	v_add3_u32 v133, 0, v65, v133
	v_add_f64 v[215:216], v[92:93], v[98:99]
	ds_write2_b64 v217, v[175:176], v[14:15] offset0:72 offset1:172
	ds_write2_b64 v218, v[195:196], v[12:13] offset0:144 offset1:244
	v_fma_f64 v[175:176], v[203:204], s[8:9], v[173:174]
	v_add_f64 v[12:13], v[115:116], -v[50:51]
	ds_write2_b64 v133, v[18:19], v[205:206] offset1:100
	v_fma_f64 v[115:116], v[207:208], s[8:9], v[181:182]
	v_add_f64 v[18:19], v[88:89], v[76:77]
	v_fma_f64 v[20:21], v[20:21], -0.5, v[113:114]
	v_add_f64 v[50:51], v[113:114], v[62:63]
	v_add_f64 v[14:15], v[58:59], v[179:180]
	v_fma_f64 v[102:103], v[197:198], s[6:7], v[102:103]
	v_add_f64 v[195:196], v[60:61], -v[34:35]
	v_add_f64 v[117:118], v[131:132], -v[117:118]
	v_fma_f64 v[113:114], v[52:53], s[8:9], v[191:192]
	v_fma_f64 v[179:180], v[213:214], s[8:9], v[193:194]
	v_add_f64 v[22:23], v[177:178], v[22:23]
	v_fma_f64 v[181:182], v[207:208], s[6:7], v[181:182]
	v_mul_f64 v[58:59], v[211:212], s[6:7]
	v_add_f64 v[197:198], v[94:95], -v[72:73]
	v_add_f64 v[131:132], v[54:55], v[171:172]
	v_add_f64 v[54:55], v[54:55], -v[171:172]
	v_fma_f64 v[171:172], v[189:190], s[6:7], v[8:9]
	v_mul_f64 v[8:9], v[209:210], -0.5
	v_fma_f64 v[177:178], v[215:216], -0.5, v[111:112]
	v_add_f64 v[111:112], v[111:112], v[92:93]
	v_mul_f64 v[189:190], v[175:176], s[6:7]
	v_fma_f64 v[173:174], v[203:204], s[6:7], v[173:174]
	v_mul_f64 v[203:204], v[115:116], -0.5
	v_add_f64 v[0:1], v[4:5], v[0:1]
	v_fma_f64 v[4:5], v[18:19], -0.5, v[109:110]
	v_fma_f64 v[193:194], v[213:214], s[6:7], v[193:194]
	v_add_f64 v[18:19], v[109:110], v[88:89]
	v_add_f64 v[109:110], v[84:85], -v[66:67]
	v_fma_f64 v[191:192], v[52:53], s[6:7], v[191:192]
	v_add_nc_u32_e32 v207, 0x400, v133
	v_mul_f64 v[205:206], v[113:114], s[6:7]
	v_mul_f64 v[52:53], v[179:180], -0.5
	v_add_nc_u32_e32 v208, 0x800, v133
	v_add_f64 v[14:15], v[14:15], v[56:57]
	v_add_f64 v[50:51], v[50:51], v[123:124]
	v_fma_f64 v[56:57], v[102:103], 0.5, v[58:59]
	v_fma_f64 v[58:59], v[195:196], s[6:7], v[20:21]
	v_fma_f64 v[20:21], v[195:196], s[8:9], v[20:21]
	v_mul_u32_u24_e32 v65, 0x12c0, v143
	v_fma_f64 v[8:9], v[171:172], s[6:7], v[8:9]
	v_add_f64 v[22:23], v[22:23], v[106:107]
	v_add_f64 v[106:107], v[111:112], v[98:99]
	v_fma_f64 v[111:112], v[181:182], 0.5, v[189:190]
	v_fma_f64 v[142:143], v[197:198], s[6:7], v[177:178]
	v_fma_f64 v[177:178], v[197:198], s[8:9], v[177:178]
	;; [unrolled: 1-line block ×3, first 2 shown]
	ds_write2_b64 v207, v[131:132], v[12:13] offset0:72 offset1:172
	ds_write2_b64 v208, v[117:118], v[54:55] offset0:144 offset1:244
	v_add_f64 v[12:13], v[199:200], v[6:7]
	v_lshlrev_b32_sdwa v195, v165, v167 dst_sel:DWORD dst_unused:UNUSED_PAD src0_sel:DWORD src1_sel:WORD_0
	v_add_f64 v[0:1], v[0:1], v[10:11]
	v_add_f64 v[10:11], v[18:19], v[76:77]
	v_fma_f64 v[18:19], v[109:110], s[6:7], v[4:5]
	v_fma_f64 v[167:168], v[193:194], 0.5, v[205:206]
	v_fma_f64 v[4:5], v[109:110], s[8:9], v[4:5]
	v_fma_f64 v[52:53], v[191:192], s[6:7], v[52:53]
	v_add_f64 v[28:29], v[28:29], -v[30:31]
	v_add_f64 v[54:55], v[50:51], v[14:15]
	v_add_f64 v[14:15], v[50:51], -v[14:15]
	v_add_f64 v[109:110], v[58:59], v[56:57]
	v_add_f64 v[56:57], v[58:59], -v[56:57]
	v_mul_f64 v[30:31], v[48:49], s[8:9]
	v_add_f64 v[50:51], v[20:21], v[8:9]
	v_add_f64 v[8:9], v[20:21], -v[8:9]
	v_add_f64 v[20:21], v[106:107], v[22:23]
	v_add_f64 v[22:23], v[106:107], -v[22:23]
	v_add_f64 v[58:59], v[142:143], v[111:112]
	v_mul_f64 v[48:49], v[183:184], -0.5
	v_add_f64 v[106:107], v[177:178], v[189:190]
	v_add_f64 v[111:112], v[142:143], -v[111:112]
	v_fma_f64 v[12:13], v[12:13], -0.5, v[201:202]
	v_add_f64 v[117:118], v[177:178], -v[189:190]
	v_add3_u32 v195, 0, v65, v195
	v_add_f64 v[131:132], v[10:11], v[0:1]
	v_add_f64 v[0:1], v[10:11], -v[0:1]
	v_add_f64 v[10:11], v[18:19], v[167:168]
	v_add_f64 v[18:19], v[18:19], -v[167:168]
	;; [unrolled: 2-line block ×3, first 2 shown]
	v_mul_u32_u24_e32 v65, 0x12c0, v164
	v_lshlrev_b32_sdwa v121, v165, v166 dst_sel:DWORD dst_unused:UNUSED_PAD src0_sel:DWORD src1_sel:WORD_0
	v_lshlrev_b32_sdwa v122, v165, v170 dst_sel:DWORD dst_unused:UNUSED_PAD src0_sel:DWORD src1_sel:WORD_0
	v_mul_u32_u24_e32 v164, 0x12c0, v169
	v_add_nc_u32_e32 v165, 0x800, v195
	v_add_nc_u32_e32 v196, 0x400, v195
	v_add3_u32 v166, 0, v65, v121
	ds_write2_b64 v195, v[54:55], v[109:110] offset1:100
	ds_write2_b64 v196, v[50:51], v[14:15] offset0:72 offset1:172
	v_add3_u32 v164, 0, v164, v122
	v_add_nc_u32_e32 v167, 0x400, v166
	v_add_nc_u32_e32 v168, 0x800, v166
	ds_write2_b64 v165, v[56:57], v[8:9] offset0:144 offset1:244
	ds_write2_b64 v166, v[20:21], v[58:59] offset1:100
	v_add_nc_u32_e32 v169, 0x400, v164
	v_add_nc_u32_e32 v170, 0x800, v164
	ds_write2_b64 v167, v[106:107], v[22:23] offset0:72 offset1:172
	ds_write2_b64 v168, v[111:112], v[117:118] offset0:144 offset1:244
	ds_write2_b64 v164, v[131:132], v[10:11] offset1:100
	ds_write2_b64 v169, v[142:143], v[0:1] offset0:72 offset1:172
	ds_write2_b64 v170, v[18:19], v[4:5] offset0:144 offset1:244
	v_add_f64 v[18:19], v[46:47], v[42:43]
	v_fma_f64 v[22:23], v[28:29], s[8:9], v[12:13]
	v_fma_f64 v[12:13], v[28:29], s[6:7], v[12:13]
	;; [unrolled: 1-line block ×3, first 2 shown]
	v_add_f64 v[46:47], v[185:186], v[38:39]
	v_add_f64 v[38:39], v[38:39], v[129:130]
	;; [unrolled: 1-line block ×6, first 2 shown]
	v_add_f64 v[32:33], v[32:33], -v[125:126]
	v_add_f64 v[60:61], v[187:188], v[60:61]
	v_add_f64 v[62:63], v[62:63], -v[123:124]
	v_mul_f64 v[104:105], v[104:105], -0.5
	v_add_f64 v[123:124], v[24:25], v[26:27]
	v_mul_f64 v[102:103], v[102:103], s[8:9]
	v_add_f64 v[94:95], v[78:79], v[94:95]
	v_add_f64 v[70:71], v[127:128], v[70:71]
	v_add_f64 v[92:93], v[92:93], -v[98:99]
	v_mul_f64 v[98:99], v[181:182], s[8:9]
	v_mul_f64 v[125:126], v[173:174], -0.5
	v_add_f64 v[76:77], v[88:89], -v[76:77]
	v_mul_f64 v[88:89], v[191:192], -0.5
	v_fma_f64 v[20:21], v[2:3], 0.5, v[30:31]
	s_waitcnt lgkmcnt(0)
	v_add_f64 v[121:122], v[12:13], v[42:43]
	v_add_f64 v[131:132], v[12:13], -v[42:43]
	v_add_f64 v[42:43], v[46:47], v[129:130]
	v_add_f64 v[46:47], v[84:85], v[66:67]
	v_fma_f64 v[38:39], v[38:39], -0.5, v[185:186]
	v_add_f64 v[36:37], v[40:41], v[36:37]
	v_mul_f64 v[40:41], v[16:17], s[8:9]
	v_fma_f64 v[44:45], v[44:45], -0.5, v[187:188]
	v_fma_f64 v[78:79], v[109:110], -0.5, v[78:79]
	v_mul_f64 v[109:110], v[171:172], -0.5
	v_add_f64 v[84:85], v[74:75], v[84:85]
	v_add_f64 v[14:15], v[52:53], v[6:7]
	;; [unrolled: 1-line block ×6, first 2 shown]
	v_fma_f64 v[94:95], v[175:176], 0.5, v[98:99]
	s_barrier
	buffer_gl0_inv
	ds_read_b64 v[48:49], v160
	ds_read_b64 v[50:51], v161
	;; [unrolled: 1-line block ×5, first 2 shown]
	ds_read_b64 v[58:59], v157 offset:27840
	ds_read2_b64 v[0:3], v134 offset0:88 offset1:208
	ds_read2_b64 v[8:11], v145 offset0:56 offset1:176
	;; [unrolled: 1-line block ×4, first 2 shown]
	v_add_f64 v[117:118], v[22:23], v[20:21]
	v_add_f64 v[119:120], v[22:23], -v[20:21]
	ds_read2_b64 v[20:23], v140 offset0:88 offset1:208
	v_fma_f64 v[46:47], v[46:47], -0.5, v[74:75]
	v_add_f64 v[74:75], v[90:91], v[82:83]
	v_mul_f64 v[82:83], v[193:194], s[8:9]
	v_fma_f64 v[40:41], v[96:97], 0.5, v[40:41]
	v_fma_f64 v[90:91], v[32:33], s[8:9], v[38:39]
	v_fma_f64 v[32:33], v[32:33], s[6:7], v[38:39]
	;; [unrolled: 1-line block ×4, first 2 shown]
	v_fma_f64 v[100:101], v[211:212], 0.5, v[102:103]
	v_fma_f64 v[44:45], v[62:63], s[6:7], v[44:45]
	v_fma_f64 v[62:63], v[209:210], s[8:9], v[109:110]
	v_fma_f64 v[86:87], v[92:93], s[8:9], v[78:79]
	v_fma_f64 v[78:79], v[92:93], s[6:7], v[78:79]
	v_fma_f64 v[92:93], v[115:116], s[8:9], v[125:126]
	v_add_f64 v[65:66], v[84:85], v[66:67]
	v_add_f64 v[106:107], v[14:15], v[18:19]
	v_add_f64 v[111:112], v[14:15], -v[18:19]
	ds_read2_b64 v[12:15], v135 offset0:56 offset1:176
	ds_read2_b64 v[16:19], v144 offset0:40 offset1:160
	;; [unrolled: 1-line block ×3, first 2 shown]
	v_add_f64 v[96:97], v[42:43], v[36:37]
	v_add_f64 v[104:105], v[34:35], v[60:61]
	v_add_f64 v[60:61], v[34:35], -v[60:61]
	v_add_f64 v[74:75], v[74:75], v[80:81]
	v_fma_f64 v[80:81], v[76:77], s[8:9], v[46:47]
	v_fma_f64 v[82:83], v[113:114], 0.5, v[82:83]
	v_fma_f64 v[46:47], v[76:77], s[6:7], v[46:47]
	v_fma_f64 v[76:77], v[179:180], s[8:9], v[88:89]
	v_add_f64 v[84:85], v[90:91], v[40:41]
	v_add_f64 v[88:89], v[42:43], -v[36:37]
	v_add_f64 v[90:91], v[90:91], -v[40:41]
	v_add_f64 v[98:99], v[32:33], v[38:39]
	v_add_f64 v[102:103], v[32:33], -v[38:39]
	v_add_f64 v[109:110], v[68:69], v[100:101]
	;; [unrolled: 2-line block ×9, first 2 shown]
	v_add_f64 v[75:76], v[46:47], -v[76:77]
	ds_read2_b64 v[32:35], v148 offset0:120 offset1:240
	ds_read2_b64 v[36:39], v149 offset0:40 offset1:160
	;; [unrolled: 1-line block ×4, first 2 shown]
	s_waitcnt lgkmcnt(0)
	s_barrier
	buffer_gl0_inv
	ds_write2_b64 v64, v[106:107], v[117:118] offset1:100
	ds_write2_b64 v217, v[121:122], v[111:112] offset0:72 offset1:172
	ds_write2_b64 v218, v[119:120], v[131:132] offset0:144 offset1:244
	ds_write2_b64 v133, v[96:97], v[84:85] offset1:100
	ds_write2_b64 v207, v[98:99], v[88:89] offset0:72 offset1:172
	ds_write2_b64 v208, v[90:91], v[102:103] offset0:144 offset1:244
	;; [unrolled: 3-line block ×5, first 2 shown]
	s_waitcnt lgkmcnt(0)
	s_barrier
	buffer_gl0_inv
	s_and_saveexec_b32 s0, vcc_lo
	s_cbranch_execz .LBB0_15
; %bb.14:
	v_mul_u32_u24_e32 v60, 5, v150
	v_mul_i32_i24_e32 v107, 5, v153
	v_mul_lo_u32 v232, s4, v139
	v_add_nc_u32_e32 v250, 0x78, v150
	v_lshlrev_b32_e32 v62, 4, v60
	v_lshlrev_b64 v[60:61], 4, v[107:108]
	v_mul_i32_i24_e32 v107, 5, v151
	v_mul_hi_u32 v251, 0x1b4e81b5, v250
	v_add_co_u32 v70, s0, s12, v62
	v_add_co_ci_u32_e64 v71, null, s13, 0, s0
	v_add_co_u32 v72, vcc_lo, s12, v60
	v_add_co_ci_u32_e32 v73, vcc_lo, s13, v61, vcc_lo
	v_add_co_u32 v60, vcc_lo, 0x24e0, v70
	v_add_co_ci_u32_e32 v61, vcc_lo, 0, v71, vcc_lo
	;; [unrolled: 2-line block ×3, first 2 shown]
	v_add_co_u32 v94, vcc_lo, 0x2000, v70
	v_lshlrev_b64 v[96:97], 4, v[107:108]
	v_add_co_ci_u32_e32 v95, vcc_lo, 0, v71, vcc_lo
	v_add_co_u32 v109, vcc_lo, 0x2000, v72
	v_add_co_ci_u32_e32 v110, vcc_lo, 0, v73, vcc_lo
	v_add_co_u32 v98, vcc_lo, s12, v96
	v_add_co_ci_u32_e32 v99, vcc_lo, s13, v97, vcc_lo
	s_clause 0x7
	global_load_dwordx4 v[62:65], v[60:61], off offset:48
	global_load_dwordx4 v[66:69], v[90:91], off offset:32
	;; [unrolled: 1-line block ×8, first 2 shown]
	v_add_co_u32 v60, vcc_lo, 0x24e0, v98
	v_add_co_ci_u32_e32 v61, vcc_lo, 0, v99, vcc_lo
	v_add_co_u32 v121, vcc_lo, 0x2000, v98
	v_add_co_ci_u32_e32 v122, vcc_lo, 0, v99, vcc_lo
	s_clause 0x6
	global_load_dwordx4 v[94:97], v[94:95], off offset:1312
	global_load_dwordx4 v[98:101], v[60:61], off offset:48
	;; [unrolled: 1-line block ×7, first 2 shown]
	v_mul_i32_i24_e32 v107, 5, v154
	v_lshlrev_b64 v[106:107], 4, v[107:108]
	v_add_co_u32 v125, vcc_lo, s12, v106
	v_add_co_ci_u32_e32 v126, vcc_lo, s13, v107, vcc_lo
	v_mul_i32_i24_e32 v107, 5, v152
	v_add_co_u32 v60, vcc_lo, 0x24e0, v125
	v_add_co_ci_u32_e32 v61, vcc_lo, 0, v126, vcc_lo
	v_lshlrev_b64 v[106:107], 4, v[107:108]
	v_add_co_u32 v142, vcc_lo, 0x2000, v125
	v_add_co_ci_u32_e32 v143, vcc_lo, 0, v126, vcc_lo
	s_clause 0x1
	global_load_dwordx4 v[125:128], v[60:61], off offset:16
	global_load_dwordx4 v[129:132], v[60:61], off offset:48
	v_add_co_u32 v108, vcc_lo, s12, v106
	v_add_co_ci_u32_e32 v133, vcc_lo, s13, v107, vcc_lo
	v_add_co_u32 v106, vcc_lo, 0x24e0, v108
	v_add_co_ci_u32_e32 v107, vcc_lo, 0, v133, vcc_lo
	s_clause 0x3
	global_load_dwordx4 v[164:167], v[60:61], off offset:32
	global_load_dwordx4 v[168:171], v[142:143], off offset:1248
	;; [unrolled: 1-line block ×4, first 2 shown]
	v_add_co_u32 v60, vcc_lo, 0x2000, v108
	v_add_co_ci_u32_e32 v61, vcc_lo, 0, v133, vcc_lo
	s_clause 0x3
	global_load_dwordx4 v[180:183], v[106:107], off offset:48
	global_load_dwordx4 v[184:187], v[106:107], off offset:32
	;; [unrolled: 1-line block ×4, first 2 shown]
	v_mul_i32_i24_e32 v108, 0xffffffb8, v152
	v_mul_i32_i24_e32 v142, 0xffffffb8, v154
	ds_read2_b64 v[151:154], v162 offset0:24 offset1:144
	ds_read2_b64 v[160:163], v163 offset0:72 offset1:192
	;; [unrolled: 1-line block ×8, first 2 shown]
	v_mul_hi_u32 v144, 0x1b4e81b5, v150
	v_mul_lo_u32 v143, s5, v138
	v_mad_u64_u32 v[60:61], null, s4, v138, 0
	ds_read2_b64 v[216:219], v140 offset0:88 offset1:208
	ds_read2_b64 v[220:223], v134 offset0:88 offset1:208
	;; [unrolled: 1-line block ×4, first 2 shown]
	ds_read_b64 v[106:107], v141
	ds_read_b64 v[133:134], v158
	ds_read_b64 v[138:139], v157 offset:27840
	ds_read_b64 v[140:141], v157
	v_lshlrev_b64 v[135:136], 4, v[136:137]
	v_add_nc_u32_e32 v142, v156, v142
	v_add_nc_u32_e32 v108, v155, v108
	v_lshrrev_b32_e32 v137, 6, v144
	v_add3_u32 v61, v61, v232, v143
	ds_read_b64 v[142:143], v142
	ds_read_b64 v[155:156], v108
	v_mul_u32_u24_e32 v137, 0x258, v137
	v_lshlrev_b64 v[60:61], 4, v[60:61]
	v_sub_nc_u32_e32 v252, v150, v137
	v_add_co_u32 v60, vcc_lo, s10, v60
	v_mad_u64_u32 v[157:158], null, s2, v252, 0
	v_add_nc_u32_e32 v144, 0x258, v252
	v_add_co_ci_u32_e32 v61, vcc_lo, s11, v61, vcc_lo
	v_add_nc_u32_e32 v159, 0x708, v252
	v_add_co_u32 v60, vcc_lo, v60, v135
	v_mad_u64_u32 v[232:233], null, s2, v144, 0
	v_mov_b32_e32 v108, v158
	v_mad_u64_u32 v[236:237], null, s2, v159, 0
	v_add_co_ci_u32_e32 v61, vcc_lo, v61, v136, vcc_lo
	v_add_nc_u32_e32 v149, 0x4b0, v252
	v_mov_b32_e32 v135, v233
	v_mad_u64_u32 v[234:235], null, s2, v149, 0
	s_waitcnt vmcnt(20) lgkmcnt(7)
	v_mul_f64 v[246:247], v[80:81], v[224:225]
	v_mul_f64 v[224:225], v[78:79], v[224:225]
	;; [unrolled: 1-line block ×3, first 2 shown]
	s_waitcnt vmcnt(13)
	v_mad_u64_u32 v[136:137], null, s3, v252, v[108:109]
	v_mov_b32_e32 v137, v237
	v_mov_b32_e32 v108, v235
	s_waitcnt lgkmcnt(6)
	v_mul_f64 v[248:249], v[96:97], v[228:229]
	v_mad_u64_u32 v[237:238], null, s3, v144, v[135:136]
	v_mul_f64 v[238:239], v[64:65], v[202:203]
	v_mul_f64 v[202:203], v[62:63], v[202:203]
	v_mov_b32_e32 v158, v136
	v_mul_f64 v[135:136], v[68:69], v[200:201]
	v_mul_f64 v[200:201], v[66:67], v[200:201]
	v_mad_u64_u32 v[240:241], null, s3, v149, v[108:109]
	s_waitcnt lgkmcnt(3)
	v_mad_u64_u32 v[241:242], null, s3, v159, v[137:138]
	v_mul_f64 v[242:243], v[76:77], v[198:199]
	v_mul_f64 v[198:199], v[74:75], v[198:199]
	v_fma_f64 v[78:79], v[4:5], v[78:79], -v[246:247]
	v_fma_f64 v[4:5], v[4:5], v[80:81], v[224:225]
	v_mul_f64 v[80:81], v[104:105], v[147:148]
	s_waitcnt vmcnt(10)
	v_mul_f64 v[224:225], v[123:124], v[210:211]
	v_mov_b32_e32 v233, v237
	v_lshlrev_b64 v[157:158], 4, v[157:158]
	v_mov_b32_e32 v235, v240
	v_mov_b32_e32 v237, v241
	v_lshlrev_b64 v[232:233], 4, v[232:233]
	v_fma_f64 v[62:63], v[30:31], v[62:63], -v[238:239]
	v_fma_f64 v[30:31], v[30:31], v[64:65], v[202:203]
	v_mul_f64 v[64:65], v[94:95], v[228:229]
	v_mul_f64 v[202:203], v[70:71], v[220:221]
	v_fma_f64 v[66:67], v[28:29], v[66:67], -v[135:136]
	v_fma_f64 v[28:29], v[28:29], v[68:69], v[200:201]
	v_mul_f64 v[68:69], v[92:93], v[153:154]
	v_mul_f64 v[135:136], v[88:89], v[162:163]
	;; [unrolled: 1-line block ×4, first 2 shown]
	v_fma_f64 v[74:75], v[10:11], v[74:75], -v[242:243]
	v_fma_f64 v[10:11], v[10:11], v[76:77], v[198:199]
	v_mul_f64 v[76:77], v[84:85], v[196:197]
	v_mul_f64 v[198:199], v[111:112], v[138:139]
	v_mul_f64 v[196:197], v[82:83], v[196:197]
	v_mul_f64 v[200:201], v[115:116], v[151:152]
	v_mul_f64 v[151:152], v[113:114], v[151:152]
	v_mul_f64 v[220:221], v[100:101], v[160:161]
	v_mul_f64 v[159:160], v[98:99], v[160:161]
	v_fma_f64 v[94:95], v[12:13], v[94:95], -v[248:249]
	v_mul_f64 v[137:138], v[109:110], v[138:139]
	v_mul_f64 v[228:229], v[119:120], v[206:207]
	v_fma_f64 v[70:71], v[0:1], v[70:71], -v[244:245]
	v_fma_f64 v[80:81], v[34:35], v[102:103], -v[80:81]
	v_fma_f64 v[12:13], v[12:13], v[96:97], v[64:65]
	v_mul_f64 v[64:65], v[102:103], v[147:148]
	v_mul_f64 v[96:97], v[121:122], v[210:211]
	v_fma_f64 v[0:1], v[0:1], v[72:73], v[202:203]
	v_mul_f64 v[72:73], v[117:118], v[206:207]
	s_waitcnt vmcnt(9)
	v_mul_f64 v[147:148], v[127:128], v[214:215]
	v_fma_f64 v[68:69], v[42:43], v[90:91], -v[68:69]
	v_fma_f64 v[42:43], v[42:43], v[92:93], v[153:154]
	s_waitcnt vmcnt(8)
	v_mul_f64 v[90:91], v[131:132], v[218:219]
	v_mul_f64 v[92:93], v[125:126], v[214:215]
	v_fma_f64 v[86:87], v[46:47], v[86:87], -v[135:136]
	v_fma_f64 v[46:47], v[46:47], v[88:89], v[162:163]
	s_waitcnt vmcnt(7)
	v_mul_f64 v[135:136], v[166:167], v[145:146]
	v_mul_f64 v[144:145], v[164:165], v[145:146]
	s_waitcnt vmcnt(5)
	v_mul_f64 v[153:154], v[174:175], v[208:209]
	v_mul_f64 v[161:162], v[172:173], v[208:209]
	;; [unrolled: 1-line block ×5, first 2 shown]
	s_waitcnt vmcnt(4)
	v_mul_f64 v[206:207], v[178:179], v[212:213]
	v_mul_f64 v[208:209], v[176:177], v[212:213]
	s_waitcnt vmcnt(3)
	v_mul_f64 v[210:211], v[182:183], v[216:217]
	v_mul_f64 v[212:213], v[180:181], v[216:217]
	;; [unrolled: 3-line block ×4, first 2 shown]
	s_waitcnt vmcnt(0)
	v_mul_f64 v[230:231], v[194:195], v[222:223]
	v_fma_f64 v[76:77], v[8:9], v[82:83], -v[76:77]
	v_fma_f64 v[82:83], v[58:59], v[109:110], -v[198:199]
	v_fma_f64 v[8:9], v[8:9], v[84:85], v[196:197]
	v_fma_f64 v[84:85], v[40:41], v[113:114], -v[200:201]
	v_fma_f64 v[98:99], v[44:45], v[98:99], -v[220:221]
	v_fma_f64 v[40:41], v[40:41], v[115:116], v[151:152]
	v_fma_f64 v[44:45], v[44:45], v[100:101], v[159:160]
	v_fma_f64 v[102:103], v[38:39], v[121:122], -v[224:225]
	v_fma_f64 v[34:35], v[34:35], v[104:105], v[64:65]
	v_fma_f64 v[38:39], v[38:39], v[123:124], v[96:97]
	v_mul_f64 v[222:223], v[192:193], v[222:223]
	v_fma_f64 v[58:59], v[58:59], v[111:112], v[137:138]
	v_fma_f64 v[100:101], v[26:27], v[117:118], -v[228:229]
	v_fma_f64 v[26:27], v[26:27], v[119:120], v[72:73]
	v_fma_f64 v[64:65], v[18:19], v[125:126], -v[147:148]
	v_fma_f64 v[72:73], v[22:23], v[129:130], -v[90:91]
	v_fma_f64 v[18:19], v[18:19], v[127:128], v[92:93]
	v_fma_f64 v[90:91], v[32:33], v[164:165], -v[135:136]
	v_fma_f64 v[92:93], v[36:37], v[172:173], -v[153:154]
	v_fma_f64 v[32:33], v[32:33], v[166:167], v[144:145]
	v_fma_f64 v[36:37], v[36:37], v[174:175], v[161:162]
	;; [unrolled: 1-line block ×3, first 2 shown]
	v_fma_f64 v[88:89], v[24:25], v[168:169], -v[202:203]
	v_fma_f64 v[24:25], v[24:25], v[170:171], v[204:205]
	v_fma_f64 v[96:97], v[16:17], v[176:177], -v[206:207]
	v_fma_f64 v[104:105], v[20:21], v[180:181], -v[210:211]
	;; [unrolled: 1-line block ×5, first 2 shown]
	v_fma_f64 v[6:7], v[6:7], v[186:187], v[216:217]
	v_fma_f64 v[14:15], v[14:15], v[190:191], v[226:227]
	v_add_f64 v[114:115], v[74:75], -v[62:63]
	v_add_f64 v[116:117], v[10:11], v[30:31]
	v_add_f64 v[118:119], v[78:79], v[94:95]
	v_add_f64 v[120:121], v[4:5], -v[12:13]
	v_add_f64 v[122:123], v[78:79], -v[94:95]
	v_add_f64 v[124:125], v[4:5], v[12:13]
	s_waitcnt lgkmcnt(2)
	v_add_f64 v[126:127], v[10:11], v[140:141]
	v_add_f64 v[4:5], v[0:1], v[4:5]
	;; [unrolled: 1-line block ×7, first 2 shown]
	v_add_f64 v[146:147], v[66:67], -v[82:83]
	v_add_f64 v[66:67], v[76:77], v[66:67]
	v_add_f64 v[161:162], v[40:41], v[44:45]
	;; [unrolled: 1-line block ×4, first 2 shown]
	v_fma_f64 v[16:17], v[16:17], v[178:179], v[208:209]
	v_fma_f64 v[20:21], v[20:21], v[182:183], v[212:213]
	;; [unrolled: 1-line block ×3, first 2 shown]
	v_add_f64 v[144:145], v[28:29], -v[58:59]
	v_add_f64 v[148:149], v[28:29], v[58:59]
	v_add_f64 v[151:152], v[42:43], v[106:107]
	;; [unrolled: 1-line block ×3, first 2 shown]
	v_add_f64 v[159:160], v[42:43], -v[46:47]
	v_add_f64 v[42:43], v[56:57], v[68:69]
	v_add_f64 v[171:172], v[40:41], v[133:134]
	v_add_f64 v[175:176], v[40:41], -v[44:45]
	v_add_f64 v[40:41], v[54:55], v[84:85]
	v_add_f64 v[185:186], v[32:33], v[36:37]
	;; [unrolled: 1-line block ×4, first 2 shown]
	v_add_f64 v[10:11], v[10:11], -v[30:31]
	v_add_f64 v[130:131], v[68:69], -v[86:87]
	v_add_f64 v[153:154], v[68:69], v[86:87]
	v_add_f64 v[68:69], v[84:85], -v[98:99]
	v_add_f64 v[165:166], v[34:35], -v[38:39]
	;; [unrolled: 1-line block ×3, first 2 shown]
	v_add_f64 v[34:35], v[26:27], v[34:35]
	v_add_f64 v[173:174], v[84:85], v[98:99]
	v_add_f64 v[80:81], v[100:101], v[80:81]
	v_add_f64 v[84:85], v[64:65], -v[72:73]
	v_add_f64 v[181:182], v[32:33], -v[36:37]
	;; [unrolled: 1-line block ×3, first 2 shown]
	s_waitcnt lgkmcnt(1)
	v_add_f64 v[187:188], v[18:19], v[142:143]
	v_add_f64 v[32:33], v[24:25], v[32:33]
	;; [unrolled: 1-line block ×5, first 2 shown]
	v_add_f64 v[191:192], v[96:97], -v[104:105]
	v_add_f64 v[195:196], v[110:111], v[112:113]
	v_add_f64 v[199:200], v[110:111], -v[112:113]
	v_add_f64 v[201:202], v[6:7], v[14:15]
	v_add_f64 v[205:206], v[96:97], v[104:105]
	;; [unrolled: 1-line block ×4, first 2 shown]
	v_fma_f64 v[116:117], v[116:117], -0.5, v[140:141]
	v_fma_f64 v[70:71], v[118:119], -0.5, v[70:71]
	;; [unrolled: 1-line block ×3, first 2 shown]
	v_add_f64 v[30:31], v[30:31], v[126:127]
	v_add_f64 v[4:5], v[4:5], v[12:13]
	v_fma_f64 v[12:13], v[128:129], -0.5, v[52:53]
	v_add_f64 v[52:53], v[74:75], v[62:63]
	v_add_f64 v[62:63], v[78:79], v[94:95]
	v_fma_f64 v[74:75], v[135:136], -0.5, v[106:107]
	v_fma_f64 v[76:77], v[137:138], -0.5, v[76:77]
	v_add_f64 v[66:67], v[66:67], v[82:83]
	v_fma_f64 v[78:79], v[161:162], -0.5, v[133:134]
	v_fma_f64 v[82:83], v[163:164], -0.5, v[100:101]
	;; [unrolled: 1-line block ×3, first 2 shown]
	v_add_f64 v[193:194], v[16:17], v[20:21]
	v_add_f64 v[197:198], v[6:7], -v[14:15]
	v_add_f64 v[6:7], v[2:3], v[6:7]
	v_fma_f64 v[8:9], v[148:149], -0.5, v[8:9]
	v_add_f64 v[46:47], v[46:47], v[151:152]
	v_add_f64 v[28:29], v[28:29], v[58:59]
	v_add_f64 v[58:59], v[42:43], v[86:87]
	v_add_f64 v[86:87], v[40:41], v[98:99]
	v_fma_f64 v[98:99], v[185:186], -0.5, v[24:25]
	v_fma_f64 v[94:95], v[177:178], -0.5, v[142:143]
	;; [unrolled: 1-line block ×3, first 2 shown]
	v_add_f64 v[18:19], v[18:19], -v[22:23]
	v_add_f64 v[44:45], v[44:45], v[171:172]
	v_add_f64 v[34:35], v[34:35], v[38:39]
	v_fma_f64 v[54:55], v[173:174], -0.5, v[54:55]
	v_add_f64 v[80:81], v[80:81], v[102:103]
	v_add_f64 v[22:23], v[22:23], v[187:188]
	;; [unrolled: 1-line block ×5, first 2 shown]
	v_fma_f64 v[92:93], v[195:196], -0.5, v[108:109]
	v_fma_f64 v[102:103], v[201:202], -0.5, v[2:3]
	v_add_f64 v[96:97], v[96:97], v[104:105]
	v_add_f64 v[104:105], v[110:111], v[112:113]
	v_fma_f64 v[108:109], v[114:115], s[6:7], v[116:117]
	v_fma_f64 v[110:111], v[120:121], s[8:9], v[70:71]
	;; [unrolled: 1-line block ×5, first 2 shown]
	v_add_f64 v[38:39], v[30:31], -v[4:5]
	v_fma_f64 v[118:119], v[10:11], s[8:9], v[12:13]
	v_fma_f64 v[10:11], v[10:11], s[6:7], v[12:13]
	v_add_f64 v[42:43], v[30:31], v[4:5]
	v_fma_f64 v[30:31], v[130:131], s[6:7], v[74:75]
	v_fma_f64 v[12:13], v[144:145], s[8:9], v[76:77]
	;; [unrolled: 1-line block ×8, first 2 shown]
	s_waitcnt lgkmcnt(0)
	v_add_f64 v[203:204], v[16:17], v[155:156]
	v_add_f64 v[16:17], v[16:17], -v[20:21]
	v_fma_f64 v[100:101], v[189:190], -0.5, v[50:51]
	v_fma_f64 v[90:91], v[193:194], -0.5, v[155:156]
	v_add_f64 v[14:15], v[6:7], v[14:15]
	v_fma_f64 v[106:107], v[205:206], -0.5, v[48:49]
	v_fma_f64 v[70:71], v[120:121], s[6:7], v[70:71]
	v_fma_f64 v[120:121], v[146:147], s[6:7], v[8:9]
	;; [unrolled: 1-line block ×3, first 2 shown]
	v_add_f64 v[2:3], v[46:47], -v[28:29]
	v_add_f64 v[0:1], v[58:59], -v[66:67]
	v_add_f64 v[6:7], v[46:47], v[28:29]
	v_add_f64 v[4:5], v[58:59], v[66:67]
	v_fma_f64 v[28:29], v[165:166], s[8:9], v[82:83]
	v_fma_f64 v[66:67], v[167:168], s[6:7], v[26:27]
	;; [unrolled: 1-line block ×6, first 2 shown]
	v_fma_f64 v[56:57], v[153:154], -0.5, v[56:57]
	v_add_f64 v[36:37], v[52:53], -v[62:63]
	v_add_f64 v[40:41], v[52:53], v[62:63]
	v_add_f64 v[26:27], v[44:45], -v[34:35]
	v_fma_f64 v[82:83], v[175:176], s[8:9], v[54:55]
	v_fma_f64 v[132:133], v[175:176], s[6:7], v[54:55]
	v_add_f64 v[24:25], v[86:87], -v[80:81]
	v_add_f64 v[46:47], v[44:45], v[34:35]
	v_add_f64 v[44:45], v[86:87], v[80:81]
	v_add_f64 v[50:51], v[22:23], -v[32:33]
	v_add_f64 v[48:49], v[64:65], -v[72:73]
	v_add_f64 v[54:55], v[22:23], v[32:33]
	v_add_f64 v[52:53], v[64:65], v[72:73]
	v_fma_f64 v[22:23], v[199:200], s[6:7], v[102:103]
	v_fma_f64 v[32:33], v[199:200], s[8:9], v[102:103]
	v_fma_f64 v[72:73], v[197:198], s[6:7], v[92:93]
	v_mul_f64 v[62:63], v[112:113], -0.5
	v_mul_f64 v[86:87], v[110:111], -0.5
	v_mul_f64 v[102:103], v[76:77], s[8:9]
	v_mul_f64 v[148:149], v[68:69], s[6:7]
	v_add_f64 v[20:21], v[20:21], v[203:204]
	v_fma_f64 v[34:35], v[181:182], s[8:9], v[88:89]
	v_fma_f64 v[80:81], v[183:184], s[8:9], v[98:99]
	;; [unrolled: 1-line block ×8, first 2 shown]
	v_mul_f64 v[64:65], v[70:71], s[8:9]
	v_fma_f64 v[146:147], v[16:17], s[6:7], v[106:107]
	v_mul_f64 v[90:91], v[74:75], s[8:9]
	v_mul_f64 v[92:93], v[12:13], -0.5
	v_mul_f64 v[94:95], v[8:9], s[6:7]
	v_mul_f64 v[100:101], v[66:67], -0.5
	v_mul_f64 v[106:107], v[28:29], -0.5
	;; [unrolled: 1-line block ×3, first 2 shown]
	v_mul_f64 v[88:89], v[116:117], s[6:7]
	v_mul_f64 v[16:17], v[120:121], -0.5
	v_mul_f64 v[153:154], v[84:85], s[8:9]
	v_fma_f64 v[124:125], v[159:160], s[8:9], v[56:57]
	v_fma_f64 v[126:127], v[159:160], s[6:7], v[56:57]
	v_add_f64 v[56:57], v[96:97], -v[104:105]
	v_mul_f64 v[163:164], v[72:73], s[8:9]
	v_fma_f64 v[110:111], v[110:111], s[8:9], v[62:63]
	v_fma_f64 v[86:87], v[112:113], s[6:7], v[86:87]
	v_add_f64 v[62:63], v[96:97], v[104:105]
	v_fma_f64 v[96:97], v[68:69], 0.5, v[102:103]
	v_fma_f64 v[102:103], v[76:77], 0.5, v[148:149]
	v_add_f64 v[58:59], v[20:21], -v[14:15]
	v_mul_f64 v[165:166], v[18:19], -0.5
	v_fma_f64 v[116:117], v[116:117], 0.5, v[64:65]
	v_add_f64 v[64:65], v[20:21], v[14:15]
	v_fma_f64 v[20:21], v[8:9], 0.5, v[90:91]
	v_fma_f64 v[90:91], v[120:121], s[6:7], v[92:93]
	v_fma_f64 v[92:93], v[74:75], 0.5, v[94:95]
	v_fma_f64 v[94:95], v[28:29], s[8:9], v[100:101]
	v_fma_f64 v[100:101], v[66:67], s[6:7], v[106:107]
	;; [unrolled: 1-line block ×3, first 2 shown]
	v_mul_f64 v[155:156], v[34:35], -0.5
	v_fma_f64 v[88:89], v[70:71], 0.5, v[88:89]
	v_mul_f64 v[159:160], v[80:81], s[6:7]
	v_mul_f64 v[161:162], v[22:23], -0.5
	v_fma_f64 v[16:17], v[12:13], s[8:9], v[16:17]
	v_fma_f64 v[106:107], v[80:81], 0.5, v[153:154]
	v_mul_f64 v[167:168], v[32:33], s[6:7]
	v_fma_f64 v[151:152], v[32:33], 0.5, v[163:164]
	v_add_f64 v[66:67], v[118:119], -v[86:87]
	v_add_f64 v[74:75], v[118:119], v[86:87]
	v_add_f64 v[34:35], v[130:131], -v[96:97]
	v_add_f64 v[32:33], v[132:133], -v[102:103]
	v_add_f64 v[86:87], v[132:133], v[102:103]
	v_lshrrev_b32_e32 v132, 6, v251
	v_fma_f64 v[153:154], v[22:23], s[6:7], v[165:166]
	v_add_nc_u32_e32 v133, 0x960, v252
	v_add_f64 v[14:15], v[122:123], -v[20:21]
	v_add_f64 v[22:23], v[122:123], v[20:21]
	v_add_f64 v[12:13], v[126:127], -v[92:93]
	v_add_f64 v[20:21], v[126:127], v[92:93]
	;; [unrolled: 2-line block ×4, first 2 shown]
	v_add_nc_u32_e32 v134, 0xbb8, v252
	v_fma_f64 v[112:113], v[78:79], s[6:7], v[155:156]
	v_add_f64 v[70:71], v[10:11], -v[88:89]
	v_add_f64 v[78:79], v[10:11], v[88:89]
	v_add_f64 v[88:89], v[130:131], v[96:97]
	v_mul_u32_u24_e32 v130, 0x258, v132
	v_add_f64 v[76:77], v[108:109], v[110:111]
	v_fma_f64 v[120:121], v[84:85], 0.5, v[159:160]
	v_fma_f64 v[148:149], v[18:19], s[8:9], v[161:162]
	v_add_f64 v[80:81], v[114:115], v[116:117]
	v_add_f64 v[10:11], v[30:31], -v[16:17]
	v_add_f64 v[18:19], v[30:31], v[16:17]
	v_add_f64 v[30:31], v[128:129], -v[94:95]
	v_add_f64 v[84:85], v[128:129], v[94:95]
	v_mad_u64_u32 v[126:127], null, s2, v133, 0
	v_mad_u64_u32 v[128:129], null, s2, v134, 0
	v_sub_nc_u32_e32 v135, v250, v130
	v_add_co_u32 v157, vcc_lo, v60, v157
	v_add_f64 v[8:9], v[124:125], -v[90:91]
	v_add_f64 v[16:17], v[124:125], v[90:91]
	v_lshlrev_b64 v[124:125], 4, v[234:235]
	v_lshlrev_b64 v[130:131], 4, v[236:237]
	v_add_co_ci_u32_e32 v158, vcc_lo, v61, v158, vcc_lo
	v_add_f64 v[96:97], v[136:137], -v[106:107]
	v_add_f64 v[104:105], v[136:137], v[106:107]
	v_mad_u32_u24 v136, 0xe10, v132, v135
	v_mad_u64_u32 v[132:133], null, s3, v133, v[127:128]
	v_add_co_u32 v122, vcc_lo, v60, v232
	v_add_co_ci_u32_e32 v123, vcc_lo, v61, v233, vcc_lo
	v_add_co_u32 v124, vcc_lo, v60, v124
	v_mad_u64_u32 v[133:134], null, s3, v134, v[129:130]
	v_add_co_ci_u32_e32 v125, vcc_lo, v61, v125, vcc_lo
	v_mad_u64_u32 v[134:135], null, s2, v136, 0
	v_add_co_u32 v129, vcc_lo, v60, v130
	v_mov_b32_e32 v127, v132
	v_add_co_ci_u32_e32 v130, vcc_lo, v61, v131, vcc_lo
	global_store_dwordx4 v[157:158], v[40:43], off
	global_store_dwordx4 v[122:123], v[78:81], off
	;; [unrolled: 1-line block ×4, first 2 shown]
	v_lshlrev_b64 v[37:38], 4, v[126:127]
	v_mov_b32_e32 v36, v135
	v_add_nc_u32_e32 v78, 0x258, v136
	v_mov_b32_e32 v129, v133
	v_fma_f64 v[155:156], v[72:73], 0.5, v[167:168]
	v_add_f64 v[72:73], v[114:115], -v[116:117]
	v_mad_u64_u32 v[39:40], null, s3, v136, v[36:37]
	v_mad_u64_u32 v[42:43], null, s2, v78, 0
	v_add_f64 v[68:69], v[108:109], -v[110:111]
	v_add_nc_u32_e32 v80, 0x4b0, v136
	v_lshlrev_b64 v[40:41], 4, v[128:129]
	v_add_co_u32 v36, vcc_lo, v60, v37
	v_mov_b32_e32 v135, v39
	v_mad_u64_u32 v[76:77], null, s2, v80, 0
	v_add_co_ci_u32_e32 v37, vcc_lo, v61, v38, vcc_lo
	v_add_co_u32 v38, vcc_lo, v60, v40
	v_mov_b32_e32 v40, v43
	v_add_nc_u32_e32 v123, 0xf0, v150
	v_lshlrev_b64 v[74:75], 4, v[134:135]
	v_add_co_ci_u32_e32 v39, vcc_lo, v61, v41, vcc_lo
	v_mad_u64_u32 v[40:41], null, s3, v78, v[40:41]
	v_add_nc_u32_e32 v122, 0x708, v136
	v_mov_b32_e32 v41, v77
	v_mul_hi_u32 v77, 0x1b4e81b5, v123
	v_add_co_u32 v74, vcc_lo, v60, v74
	v_mad_u64_u32 v[78:79], null, s2, v122, 0
	v_add_co_ci_u32_e32 v75, vcc_lo, v61, v75, vcc_lo
	v_mov_b32_e32 v43, v40
	global_store_dwordx4 v[36:37], v[70:73], off
	global_store_dwordx4 v[38:39], v[66:69], off
	;; [unrolled: 1-line block ×3, first 2 shown]
	v_lshrrev_b32_e32 v62, 6, v77
	v_mad_u64_u32 v[80:81], null, s3, v80, v[41:42]
	v_mov_b32_e32 v38, v79
	v_lshlrev_b64 v[36:37], 4, v[42:43]
	v_add_nc_u32_e32 v43, 0x960, v136
	v_mul_u32_u24_e32 v41, 0x258, v62
	v_add_nc_u32_e32 v70, 0xbb8, v136
	v_mad_u64_u32 v[38:39], null, s3, v122, v[38:39]
	v_mad_u64_u32 v[39:40], null, s2, v43, 0
	v_sub_nc_u32_e32 v63, v123, v41
	v_add_f64 v[94:95], v[138:139], -v[120:121]
	v_add_f64 v[102:103], v[138:139], v[120:121]
	v_add_f64 v[120:121], v[142:143], v[151:152]
	;; [unrolled: 1-line block ×3, first 2 shown]
	v_mad_u32_u24 v72, 0xe10, v62, v63
	v_mad_u64_u32 v[62:63], null, s2, v70, 0
	v_add_f64 v[116:117], v[140:141], v[148:149]
	v_add_f64 v[114:115], v[144:145], v[153:154]
	v_mov_b32_e32 v77, v80
	v_mov_b32_e32 v79, v38
	;; [unrolled: 1-line block ×3, first 2 shown]
	v_mad_u64_u32 v[64:65], null, s2, v72, 0
	v_lshlrev_b64 v[41:42], 4, v[76:77]
	v_add_co_u32 v36, vcc_lo, v60, v36
	v_mad_u64_u32 v[68:69], null, s3, v43, v[38:39]
	v_mov_b32_e32 v38, v63
	v_add_co_ci_u32_e32 v37, vcc_lo, v61, v37, vcc_lo
	v_lshlrev_b64 v[66:67], 4, v[78:79]
	v_add_co_u32 v41, vcc_lo, v60, v41
	v_mov_b32_e32 v40, v65
	v_mad_u64_u32 v[69:70], null, s3, v70, v[38:39]
	v_add_co_ci_u32_e32 v42, vcc_lo, v61, v42, vcc_lo
	v_add_co_u32 v65, vcc_lo, v60, v66
	v_mad_u64_u32 v[70:71], null, s3, v72, v[40:41]
	v_mov_b32_e32 v40, v68
	v_add_co_ci_u32_e32 v66, vcc_lo, v61, v67, vcc_lo
	v_add_f64 v[90:91], v[98:99], -v[112:113]
	v_add_f64 v[98:99], v[98:99], v[112:113]
	v_add_f64 v[108:109], v[140:141], -v[148:149]
	v_add_f64 v[112:113], v[142:143], -v[151:152]
	;; [unrolled: 1-line block ×4, first 2 shown]
	v_mov_b32_e32 v63, v69
	global_store_dwordx4 v[36:37], v[118:121], off
	global_store_dwordx4 v[41:42], v[114:117], off
	global_store_dwordx4 v[65:66], v[56:59], off
	v_lshlrev_b64 v[36:37], 4, v[39:40]
	v_add_nc_u32_e32 v58, 0x258, v72
	v_add_nc_u32_e32 v66, 0x4b0, v72
	v_mov_b32_e32 v65, v70
	v_lshlrev_b64 v[40:41], 4, v[62:63]
	v_mad_u64_u32 v[38:39], null, s2, v58, 0
	v_add_co_u32 v36, vcc_lo, v60, v36
	v_mad_u64_u32 v[56:57], null, s2, v66, 0
	v_add_co_ci_u32_e32 v37, vcc_lo, v61, v37, vcc_lo
	v_lshlrev_b64 v[42:43], 4, v[64:65]
	v_add_co_u32 v40, vcc_lo, v60, v40
	v_add_co_ci_u32_e32 v41, vcc_lo, v61, v41, vcc_lo
	global_store_dwordx4 v[36:37], v[110:113], off
	v_mad_u64_u32 v[58:59], null, s3, v58, v[39:40]
	v_mov_b32_e32 v39, v57
	v_add_co_u32 v42, vcc_lo, v60, v42
	v_add_co_ci_u32_e32 v43, vcc_lo, v61, v43, vcc_lo
	v_mad_u64_u32 v[62:63], null, s3, v66, v[39:40]
	global_store_dwordx4 v[40:41], v[106:109], off
	global_store_dwordx4 v[42:43], v[52:55], off
	v_add_nc_u32_e32 v55, 0x168, v150
	v_mov_b32_e32 v39, v58
	v_add_nc_u32_e32 v52, 0x708, v72
	v_add_nc_u32_e32 v58, 0x960, v72
	;; [unrolled: 1-line block ×3, first 2 shown]
	v_mul_hi_u32 v42, 0x1b4e81b5, v55
	v_mov_b32_e32 v57, v62
	v_lshlrev_b64 v[36:37], 4, v[38:39]
	v_mad_u64_u32 v[38:39], null, s2, v52, 0
	v_lshlrev_b64 v[40:41], 4, v[56:57]
	v_lshrrev_b32_e32 v57, 6, v42
	v_add_co_u32 v36, vcc_lo, v60, v36
	v_add_co_ci_u32_e32 v37, vcc_lo, v61, v37, vcc_lo
	v_mad_u64_u32 v[52:53], null, s3, v52, v[39:40]
	v_mul_u32_u24_e32 v39, 0x258, v57
	v_mad_u64_u32 v[42:43], null, s2, v58, 0
	v_add_co_u32 v40, vcc_lo, v60, v40
	v_sub_nc_u32_e32 v62, v55, v39
	v_add_co_ci_u32_e32 v41, vcc_lo, v61, v41, vcc_lo
	v_mad_u64_u32 v[53:54], null, s2, v59, 0
	v_mov_b32_e32 v39, v52
	v_mad_u32_u24 v52, 0xe10, v57, v62
	v_mad_u64_u32 v[55:56], null, s3, v58, v[43:44]
	global_store_dwordx4 v[36:37], v[102:105], off
	global_store_dwordx4 v[40:41], v[98:101], off
	v_lshlrev_b64 v[36:37], 4, v[38:39]
	v_mad_u64_u32 v[39:40], null, s2, v52, 0
	v_mov_b32_e32 v38, v54
	v_mov_b32_e32 v43, v55
	v_add_nc_u32_e32 v57, 0x258, v52
	v_add_co_u32 v36, vcc_lo, v60, v36
	v_add_co_ci_u32_e32 v37, vcc_lo, v61, v37, vcc_lo
	v_mad_u64_u32 v[54:55], null, s3, v59, v[38:39]
	v_mov_b32_e32 v38, v40
	v_lshlrev_b64 v[40:41], 4, v[42:43]
	v_mad_u64_u32 v[55:56], null, s2, v57, 0
	global_store_dwordx4 v[36:37], v[48:51], off
	v_mad_u64_u32 v[42:43], null, s3, v52, v[38:39]
	v_add_co_u32 v48, vcc_lo, v60, v40
	v_lshlrev_b64 v[36:37], 4, v[53:54]
	v_mov_b32_e32 v38, v56
	v_add_co_ci_u32_e32 v49, vcc_lo, v61, v41, vcc_lo
	v_mov_b32_e32 v40, v42
	v_add_nc_u32_e32 v50, 0x4b0, v52
	v_add_co_u32 v36, vcc_lo, v60, v36
	v_add_co_ci_u32_e32 v37, vcc_lo, v61, v37, vcc_lo
	v_lshlrev_b64 v[39:40], 4, v[39:40]
	global_store_dwordx4 v[48:49], v[94:97], off
	v_add_nc_u32_e32 v48, 0x1e0, v150
	global_store_dwordx4 v[36:37], v[90:93], off
	v_add_nc_u32_e32 v49, 0x960, v52
	v_mad_u64_u32 v[41:42], null, s3, v57, v[38:39]
	v_mad_u64_u32 v[42:43], null, s2, v50, 0
	v_add_co_u32 v38, vcc_lo, v60, v39
	v_add_co_ci_u32_e32 v39, vcc_lo, v61, v40, vcc_lo
	v_mov_b32_e32 v56, v41
	v_mov_b32_e32 v36, v43
	global_store_dwordx4 v[38:39], v[44:47], off
	v_add_nc_u32_e32 v46, 0x708, v52
	v_lshlrev_b64 v[37:38], 4, v[55:56]
	v_mul_hi_u32 v47, 0x1b4e81b5, v48
	v_mad_u64_u32 v[44:45], null, s2, v49, 0
	v_mad_u64_u32 v[39:40], null, s3, v50, v[36:37]
	;; [unrolled: 1-line block ×3, first 2 shown]
	v_add_co_u32 v36, vcc_lo, v60, v37
	v_add_co_ci_u32_e32 v37, vcc_lo, v61, v38, vcc_lo
	v_add_nc_u32_e32 v50, 0xbb8, v52
	v_mov_b32_e32 v43, v39
	v_mov_b32_e32 v38, v41
	v_lshrrev_b32_e32 v51, 6, v47
	global_store_dwordx4 v[36:37], v[86:89], off
	v_mov_b32_e32 v36, v45
	v_lshlrev_b64 v[42:43], 4, v[42:43]
	v_mad_u64_u32 v[38:39], null, s3, v46, v[38:39]
	v_mad_u64_u32 v[46:47], null, s2, v50, 0
	v_mul_u32_u24_e32 v39, 0x258, v51
	v_mad_u64_u32 v[36:37], null, s3, v49, v[36:37]
	v_mov_b32_e32 v41, v38
	v_sub_nc_u32_e32 v45, v48, v39
	v_mov_b32_e32 v37, v47
	v_add_co_u32 v38, vcc_lo, v60, v42
	v_add_co_ci_u32_e32 v39, vcc_lo, v61, v43, vcc_lo
	v_mad_u32_u24 v51, 0xe10, v51, v45
	v_lshlrev_b64 v[40:41], 4, v[40:41]
	v_mad_u64_u32 v[42:43], null, s3, v50, v[37:38]
	v_mov_b32_e32 v45, v36
	v_mad_u64_u32 v[48:49], null, s2, v51, 0
	v_add_co_u32 v36, vcc_lo, v60, v40
	v_add_co_ci_u32_e32 v37, vcc_lo, v61, v41, vcc_lo
	v_mov_b32_e32 v47, v42
	global_store_dwordx4 v[38:39], v[82:85], off
	v_lshlrev_b64 v[39:40], 4, v[44:45]
	v_mov_b32_e32 v38, v49
	global_store_dwordx4 v[36:37], v[24:27], off
	v_lshlrev_b64 v[24:25], 4, v[46:47]
	v_add_co_u32 v36, vcc_lo, v60, v39
	v_add_co_ci_u32_e32 v37, vcc_lo, v61, v40, vcc_lo
	v_mad_u64_u32 v[26:27], null, s3, v51, v[38:39]
	v_add_co_u32 v24, vcc_lo, v60, v24
	v_add_nc_u32_e32 v38, 0x258, v51
	v_add_co_ci_u32_e32 v25, vcc_lo, v61, v25, vcc_lo
	global_store_dwordx4 v[36:37], v[32:35], off
	v_add_nc_u32_e32 v34, 0x4b0, v51
	v_add_nc_u32_e32 v36, 0x708, v51
	v_mov_b32_e32 v49, v26
	v_mad_u64_u32 v[26:27], null, s2, v38, 0
	global_store_dwordx4 v[24:25], v[28:31], off
	v_mad_u64_u32 v[28:29], null, s2, v34, 0
	v_mad_u64_u32 v[30:31], null, s2, v36, 0
	v_lshlrev_b64 v[24:25], 4, v[48:49]
	v_add_nc_u32_e32 v39, 0x960, v51
	v_add_nc_u32_e32 v40, 0xbb8, v51
	v_mad_u64_u32 v[32:33], null, s3, v38, v[27:28]
	v_mov_b32_e32 v27, v31
	v_mad_u64_u32 v[33:34], null, s3, v34, v[29:30]
	v_add_co_u32 v24, vcc_lo, v60, v24
	v_mad_u64_u32 v[34:35], null, s2, v39, 0
	v_add_co_ci_u32_e32 v25, vcc_lo, v61, v25, vcc_lo
	v_mad_u64_u32 v[36:37], null, s3, v36, v[27:28]
	v_mov_b32_e32 v27, v32
	v_mad_u64_u32 v[37:38], null, s2, v40, 0
	global_store_dwordx4 v[24:25], v[4:7], off
	v_mov_b32_e32 v4, v35
	v_lshlrev_b64 v[5:6], 4, v[26:27]
	v_mov_b32_e32 v29, v33
	v_mov_b32_e32 v31, v36
	v_mad_u64_u32 v[24:25], null, s3, v39, v[4:5]
	v_mov_b32_e32 v4, v38
	v_add_co_u32 v5, vcc_lo, v60, v5
	v_lshlrev_b64 v[25:26], 4, v[28:29]
	v_add_co_ci_u32_e32 v6, vcc_lo, v61, v6, vcc_lo
	v_mad_u64_u32 v[27:28], null, s3, v40, v[4:5]
	v_lshlrev_b64 v[28:29], 4, v[30:31]
	v_mov_b32_e32 v35, v24
	v_add_co_u32 v24, vcc_lo, v60, v25
	v_add_co_ci_u32_e32 v25, vcc_lo, v61, v26, vcc_lo
	v_mov_b32_e32 v38, v27
	v_lshlrev_b64 v[30:31], 4, v[34:35]
	v_add_co_u32 v26, vcc_lo, v60, v28
	v_add_co_ci_u32_e32 v27, vcc_lo, v61, v29, vcc_lo
	v_lshlrev_b64 v[28:29], 4, v[37:38]
	v_add_co_u32 v30, vcc_lo, v60, v30
	v_add_co_ci_u32_e32 v31, vcc_lo, v61, v31, vcc_lo
	v_add_co_u32 v28, vcc_lo, v60, v28
	v_add_co_ci_u32_e32 v29, vcc_lo, v61, v29, vcc_lo
	global_store_dwordx4 v[5:6], v[20:23], off
	global_store_dwordx4 v[24:25], v[16:19], off
	;; [unrolled: 1-line block ×5, first 2 shown]
.LBB0_15:
	s_endpgm
	.section	.rodata,"a",@progbits
	.p2align	6, 0x0
	.amdhsa_kernel fft_rtc_fwd_len3600_factors_10_10_6_6_wgs_120_tpt_120_halfLds_dp_op_CI_CI_sbrr_dirReg
		.amdhsa_group_segment_fixed_size 0
		.amdhsa_private_segment_fixed_size 0
		.amdhsa_kernarg_size 104
		.amdhsa_user_sgpr_count 6
		.amdhsa_user_sgpr_private_segment_buffer 1
		.amdhsa_user_sgpr_dispatch_ptr 0
		.amdhsa_user_sgpr_queue_ptr 0
		.amdhsa_user_sgpr_kernarg_segment_ptr 1
		.amdhsa_user_sgpr_dispatch_id 0
		.amdhsa_user_sgpr_flat_scratch_init 0
		.amdhsa_user_sgpr_private_segment_size 0
		.amdhsa_wavefront_size32 1
		.amdhsa_uses_dynamic_stack 0
		.amdhsa_system_sgpr_private_segment_wavefront_offset 0
		.amdhsa_system_sgpr_workgroup_id_x 1
		.amdhsa_system_sgpr_workgroup_id_y 0
		.amdhsa_system_sgpr_workgroup_id_z 0
		.amdhsa_system_sgpr_workgroup_info 0
		.amdhsa_system_vgpr_workitem_id 0
		.amdhsa_next_free_vgpr 253
		.amdhsa_next_free_sgpr 31
		.amdhsa_reserve_vcc 1
		.amdhsa_reserve_flat_scratch 0
		.amdhsa_float_round_mode_32 0
		.amdhsa_float_round_mode_16_64 0
		.amdhsa_float_denorm_mode_32 3
		.amdhsa_float_denorm_mode_16_64 3
		.amdhsa_dx10_clamp 1
		.amdhsa_ieee_mode 1
		.amdhsa_fp16_overflow 0
		.amdhsa_workgroup_processor_mode 1
		.amdhsa_memory_ordered 1
		.amdhsa_forward_progress 0
		.amdhsa_shared_vgpr_count 0
		.amdhsa_exception_fp_ieee_invalid_op 0
		.amdhsa_exception_fp_denorm_src 0
		.amdhsa_exception_fp_ieee_div_zero 0
		.amdhsa_exception_fp_ieee_overflow 0
		.amdhsa_exception_fp_ieee_underflow 0
		.amdhsa_exception_fp_ieee_inexact 0
		.amdhsa_exception_int_div_zero 0
	.end_amdhsa_kernel
	.text
.Lfunc_end0:
	.size	fft_rtc_fwd_len3600_factors_10_10_6_6_wgs_120_tpt_120_halfLds_dp_op_CI_CI_sbrr_dirReg, .Lfunc_end0-fft_rtc_fwd_len3600_factors_10_10_6_6_wgs_120_tpt_120_halfLds_dp_op_CI_CI_sbrr_dirReg
                                        ; -- End function
	.section	.AMDGPU.csdata,"",@progbits
; Kernel info:
; codeLenInByte = 22872
; NumSgprs: 33
; NumVgprs: 253
; ScratchSize: 0
; MemoryBound: 1
; FloatMode: 240
; IeeeMode: 1
; LDSByteSize: 0 bytes/workgroup (compile time only)
; SGPRBlocks: 4
; VGPRBlocks: 31
; NumSGPRsForWavesPerEU: 33
; NumVGPRsForWavesPerEU: 253
; Occupancy: 4
; WaveLimiterHint : 1
; COMPUTE_PGM_RSRC2:SCRATCH_EN: 0
; COMPUTE_PGM_RSRC2:USER_SGPR: 6
; COMPUTE_PGM_RSRC2:TRAP_HANDLER: 0
; COMPUTE_PGM_RSRC2:TGID_X_EN: 1
; COMPUTE_PGM_RSRC2:TGID_Y_EN: 0
; COMPUTE_PGM_RSRC2:TGID_Z_EN: 0
; COMPUTE_PGM_RSRC2:TIDIG_COMP_CNT: 0
	.text
	.p2alignl 6, 3214868480
	.fill 48, 4, 3214868480
	.type	__hip_cuid_6a912dd701a734af,@object ; @__hip_cuid_6a912dd701a734af
	.section	.bss,"aw",@nobits
	.globl	__hip_cuid_6a912dd701a734af
__hip_cuid_6a912dd701a734af:
	.byte	0                               ; 0x0
	.size	__hip_cuid_6a912dd701a734af, 1

	.ident	"AMD clang version 19.0.0git (https://github.com/RadeonOpenCompute/llvm-project roc-6.4.0 25133 c7fe45cf4b819c5991fe208aaa96edf142730f1d)"
	.section	".note.GNU-stack","",@progbits
	.addrsig
	.addrsig_sym __hip_cuid_6a912dd701a734af
	.amdgpu_metadata
---
amdhsa.kernels:
  - .args:
      - .actual_access:  read_only
        .address_space:  global
        .offset:         0
        .size:           8
        .value_kind:     global_buffer
      - .offset:         8
        .size:           8
        .value_kind:     by_value
      - .actual_access:  read_only
        .address_space:  global
        .offset:         16
        .size:           8
        .value_kind:     global_buffer
      - .actual_access:  read_only
        .address_space:  global
        .offset:         24
        .size:           8
        .value_kind:     global_buffer
      - .actual_access:  read_only
        .address_space:  global
        .offset:         32
        .size:           8
        .value_kind:     global_buffer
      - .offset:         40
        .size:           8
        .value_kind:     by_value
      - .actual_access:  read_only
        .address_space:  global
        .offset:         48
        .size:           8
        .value_kind:     global_buffer
      - .actual_access:  read_only
        .address_space:  global
        .offset:         56
        .size:           8
        .value_kind:     global_buffer
      - .offset:         64
        .size:           4
        .value_kind:     by_value
      - .actual_access:  read_only
        .address_space:  global
        .offset:         72
        .size:           8
        .value_kind:     global_buffer
      - .actual_access:  read_only
        .address_space:  global
        .offset:         80
        .size:           8
        .value_kind:     global_buffer
      - .actual_access:  read_only
        .address_space:  global
        .offset:         88
        .size:           8
        .value_kind:     global_buffer
      - .actual_access:  write_only
        .address_space:  global
        .offset:         96
        .size:           8
        .value_kind:     global_buffer
    .group_segment_fixed_size: 0
    .kernarg_segment_align: 8
    .kernarg_segment_size: 104
    .language:       OpenCL C
    .language_version:
      - 2
      - 0
    .max_flat_workgroup_size: 120
    .name:           fft_rtc_fwd_len3600_factors_10_10_6_6_wgs_120_tpt_120_halfLds_dp_op_CI_CI_sbrr_dirReg
    .private_segment_fixed_size: 0
    .sgpr_count:     33
    .sgpr_spill_count: 0
    .symbol:         fft_rtc_fwd_len3600_factors_10_10_6_6_wgs_120_tpt_120_halfLds_dp_op_CI_CI_sbrr_dirReg.kd
    .uniform_work_group_size: 1
    .uses_dynamic_stack: false
    .vgpr_count:     253
    .vgpr_spill_count: 0
    .wavefront_size: 32
    .workgroup_processor_mode: 1
amdhsa.target:   amdgcn-amd-amdhsa--gfx1030
amdhsa.version:
  - 1
  - 2
...

	.end_amdgpu_metadata
